;; amdgpu-corpus repo=ROCm/rocThrust kind=compiled arch=gfx1100 opt=O3
	.text
	.amdgcn_target "amdgcn-amd-amdhsa--gfx1100"
	.amdhsa_code_object_version 6
	.section	.text._ZN6thrust23THRUST_200600_302600_NS11hip_rocprim14__parallel_for6kernelILj256ENS1_20__uninitialized_fill7functorINS0_10device_ptrIiEEiEEmLj1EEEvT0_T1_SA_,"axG",@progbits,_ZN6thrust23THRUST_200600_302600_NS11hip_rocprim14__parallel_for6kernelILj256ENS1_20__uninitialized_fill7functorINS0_10device_ptrIiEEiEEmLj1EEEvT0_T1_SA_,comdat
	.protected	_ZN6thrust23THRUST_200600_302600_NS11hip_rocprim14__parallel_for6kernelILj256ENS1_20__uninitialized_fill7functorINS0_10device_ptrIiEEiEEmLj1EEEvT0_T1_SA_ ; -- Begin function _ZN6thrust23THRUST_200600_302600_NS11hip_rocprim14__parallel_for6kernelILj256ENS1_20__uninitialized_fill7functorINS0_10device_ptrIiEEiEEmLj1EEEvT0_T1_SA_
	.globl	_ZN6thrust23THRUST_200600_302600_NS11hip_rocprim14__parallel_for6kernelILj256ENS1_20__uninitialized_fill7functorINS0_10device_ptrIiEEiEEmLj1EEEvT0_T1_SA_
	.p2align	8
	.type	_ZN6thrust23THRUST_200600_302600_NS11hip_rocprim14__parallel_for6kernelILj256ENS1_20__uninitialized_fill7functorINS0_10device_ptrIiEEiEEmLj1EEEvT0_T1_SA_,@function
_ZN6thrust23THRUST_200600_302600_NS11hip_rocprim14__parallel_for6kernelILj256ENS1_20__uninitialized_fill7functorINS0_10device_ptrIiEEiEEmLj1EEEvT0_T1_SA_: ; @_ZN6thrust23THRUST_200600_302600_NS11hip_rocprim14__parallel_for6kernelILj256ENS1_20__uninitialized_fill7functorINS0_10device_ptrIiEEiEEmLj1EEEvT0_T1_SA_
; %bb.0:
	s_load_b128 s[4:7], s[0:1], 0x10
	s_lshl_b32 s2, s15, 8
	s_waitcnt lgkmcnt(0)
	s_add_u32 s2, s2, s6
	s_addc_u32 s3, 0, s7
	s_sub_u32 s4, s4, s2
	s_subb_u32 s5, s5, s3
	s_delay_alu instid0(SALU_CYCLE_1) | instskip(NEXT) | instid1(VALU_DEP_1)
	v_cmp_gt_u64_e64 s5, 0x100, s[4:5]
	s_and_b32 vcc_lo, exec_lo, s5
	s_mov_b32 s5, 0
	s_cbranch_vccz .LBB0_2
; %bb.1:
	v_cmp_gt_u32_e32 vcc_lo, s4, v0
	s_and_b32 s5, vcc_lo, exec_lo
	s_cbranch_execz .LBB0_3
	s_branch .LBB0_4
.LBB0_2:
.LBB0_3:
	s_or_b32 s5, s5, exec_lo
.LBB0_4:
	s_delay_alu instid0(SALU_CYCLE_1)
	s_and_saveexec_b32 s4, s5
	s_cbranch_execnz .LBB0_6
; %bb.5:
	s_endpgm
.LBB0_6:
	s_clause 0x1
	s_load_b64 s[4:5], s[0:1], 0x0
	s_load_b32 s6, s[0:1], 0x8
	v_mov_b32_e32 v1, 0
	s_lshl_b64 s[0:1], s[2:3], 2
	s_waitcnt lgkmcnt(0)
	s_add_u32 s0, s4, s0
	v_mov_b32_e32 v2, s6
	v_lshlrev_b64 v[0:1], 2, v[0:1]
	s_addc_u32 s1, s5, s1
	s_delay_alu instid0(VALU_DEP_1) | instskip(NEXT) | instid1(VALU_DEP_2)
	v_add_co_u32 v0, vcc_lo, s0, v0
	v_add_co_ci_u32_e32 v1, vcc_lo, s1, v1, vcc_lo
	flat_store_b32 v[0:1], v2
	s_endpgm
	.section	.rodata,"a",@progbits
	.p2align	6, 0x0
	.amdhsa_kernel _ZN6thrust23THRUST_200600_302600_NS11hip_rocprim14__parallel_for6kernelILj256ENS1_20__uninitialized_fill7functorINS0_10device_ptrIiEEiEEmLj1EEEvT0_T1_SA_
		.amdhsa_group_segment_fixed_size 0
		.amdhsa_private_segment_fixed_size 0
		.amdhsa_kernarg_size 32
		.amdhsa_user_sgpr_count 15
		.amdhsa_user_sgpr_dispatch_ptr 0
		.amdhsa_user_sgpr_queue_ptr 0
		.amdhsa_user_sgpr_kernarg_segment_ptr 1
		.amdhsa_user_sgpr_dispatch_id 0
		.amdhsa_user_sgpr_private_segment_size 0
		.amdhsa_wavefront_size32 1
		.amdhsa_uses_dynamic_stack 0
		.amdhsa_enable_private_segment 0
		.amdhsa_system_sgpr_workgroup_id_x 1
		.amdhsa_system_sgpr_workgroup_id_y 0
		.amdhsa_system_sgpr_workgroup_id_z 0
		.amdhsa_system_sgpr_workgroup_info 0
		.amdhsa_system_vgpr_workitem_id 0
		.amdhsa_next_free_vgpr 3
		.amdhsa_next_free_sgpr 16
		.amdhsa_reserve_vcc 1
		.amdhsa_float_round_mode_32 0
		.amdhsa_float_round_mode_16_64 0
		.amdhsa_float_denorm_mode_32 3
		.amdhsa_float_denorm_mode_16_64 3
		.amdhsa_dx10_clamp 1
		.amdhsa_ieee_mode 1
		.amdhsa_fp16_overflow 0
		.amdhsa_workgroup_processor_mode 1
		.amdhsa_memory_ordered 1
		.amdhsa_forward_progress 0
		.amdhsa_shared_vgpr_count 0
		.amdhsa_exception_fp_ieee_invalid_op 0
		.amdhsa_exception_fp_denorm_src 0
		.amdhsa_exception_fp_ieee_div_zero 0
		.amdhsa_exception_fp_ieee_overflow 0
		.amdhsa_exception_fp_ieee_underflow 0
		.amdhsa_exception_fp_ieee_inexact 0
		.amdhsa_exception_int_div_zero 0
	.end_amdhsa_kernel
	.section	.text._ZN6thrust23THRUST_200600_302600_NS11hip_rocprim14__parallel_for6kernelILj256ENS1_20__uninitialized_fill7functorINS0_10device_ptrIiEEiEEmLj1EEEvT0_T1_SA_,"axG",@progbits,_ZN6thrust23THRUST_200600_302600_NS11hip_rocprim14__parallel_for6kernelILj256ENS1_20__uninitialized_fill7functorINS0_10device_ptrIiEEiEEmLj1EEEvT0_T1_SA_,comdat
.Lfunc_end0:
	.size	_ZN6thrust23THRUST_200600_302600_NS11hip_rocprim14__parallel_for6kernelILj256ENS1_20__uninitialized_fill7functorINS0_10device_ptrIiEEiEEmLj1EEEvT0_T1_SA_, .Lfunc_end0-_ZN6thrust23THRUST_200600_302600_NS11hip_rocprim14__parallel_for6kernelILj256ENS1_20__uninitialized_fill7functorINS0_10device_ptrIiEEiEEmLj1EEEvT0_T1_SA_
                                        ; -- End function
	.section	.AMDGPU.csdata,"",@progbits
; Kernel info:
; codeLenInByte = 176
; NumSgprs: 18
; NumVgprs: 3
; ScratchSize: 0
; MemoryBound: 0
; FloatMode: 240
; IeeeMode: 1
; LDSByteSize: 0 bytes/workgroup (compile time only)
; SGPRBlocks: 2
; VGPRBlocks: 0
; NumSGPRsForWavesPerEU: 18
; NumVGPRsForWavesPerEU: 3
; Occupancy: 16
; WaveLimiterHint : 0
; COMPUTE_PGM_RSRC2:SCRATCH_EN: 0
; COMPUTE_PGM_RSRC2:USER_SGPR: 15
; COMPUTE_PGM_RSRC2:TRAP_HANDLER: 0
; COMPUTE_PGM_RSRC2:TGID_X_EN: 1
; COMPUTE_PGM_RSRC2:TGID_Y_EN: 0
; COMPUTE_PGM_RSRC2:TGID_Z_EN: 0
; COMPUTE_PGM_RSRC2:TIDIG_COMP_CNT: 0
	.section	.text._ZN7rocprim17ROCPRIM_400000_NS6detail30init_device_scan_by_key_kernelINS1_19lookback_scan_stateINS0_5tupleIJibEEELb0ELb1EEEN6thrust23THRUST_200600_302600_NS18transform_iteratorI9row_indexNS8_17counting_iteratorImNS8_11use_defaultESC_SC_EESC_SC_EEjNS1_16block_id_wrapperIjLb0EEEEEvT_jjPNSH_10value_typeET0_PNSt15iterator_traitsISK_E10value_typeEmT1_T2_,"axG",@progbits,_ZN7rocprim17ROCPRIM_400000_NS6detail30init_device_scan_by_key_kernelINS1_19lookback_scan_stateINS0_5tupleIJibEEELb0ELb1EEEN6thrust23THRUST_200600_302600_NS18transform_iteratorI9row_indexNS8_17counting_iteratorImNS8_11use_defaultESC_SC_EESC_SC_EEjNS1_16block_id_wrapperIjLb0EEEEEvT_jjPNSH_10value_typeET0_PNSt15iterator_traitsISK_E10value_typeEmT1_T2_,comdat
	.protected	_ZN7rocprim17ROCPRIM_400000_NS6detail30init_device_scan_by_key_kernelINS1_19lookback_scan_stateINS0_5tupleIJibEEELb0ELb1EEEN6thrust23THRUST_200600_302600_NS18transform_iteratorI9row_indexNS8_17counting_iteratorImNS8_11use_defaultESC_SC_EESC_SC_EEjNS1_16block_id_wrapperIjLb0EEEEEvT_jjPNSH_10value_typeET0_PNSt15iterator_traitsISK_E10value_typeEmT1_T2_ ; -- Begin function _ZN7rocprim17ROCPRIM_400000_NS6detail30init_device_scan_by_key_kernelINS1_19lookback_scan_stateINS0_5tupleIJibEEELb0ELb1EEEN6thrust23THRUST_200600_302600_NS18transform_iteratorI9row_indexNS8_17counting_iteratorImNS8_11use_defaultESC_SC_EESC_SC_EEjNS1_16block_id_wrapperIjLb0EEEEEvT_jjPNSH_10value_typeET0_PNSt15iterator_traitsISK_E10value_typeEmT1_T2_
	.globl	_ZN7rocprim17ROCPRIM_400000_NS6detail30init_device_scan_by_key_kernelINS1_19lookback_scan_stateINS0_5tupleIJibEEELb0ELb1EEEN6thrust23THRUST_200600_302600_NS18transform_iteratorI9row_indexNS8_17counting_iteratorImNS8_11use_defaultESC_SC_EESC_SC_EEjNS1_16block_id_wrapperIjLb0EEEEEvT_jjPNSH_10value_typeET0_PNSt15iterator_traitsISK_E10value_typeEmT1_T2_
	.p2align	8
	.type	_ZN7rocprim17ROCPRIM_400000_NS6detail30init_device_scan_by_key_kernelINS1_19lookback_scan_stateINS0_5tupleIJibEEELb0ELb1EEEN6thrust23THRUST_200600_302600_NS18transform_iteratorI9row_indexNS8_17counting_iteratorImNS8_11use_defaultESC_SC_EESC_SC_EEjNS1_16block_id_wrapperIjLb0EEEEEvT_jjPNSH_10value_typeET0_PNSt15iterator_traitsISK_E10value_typeEmT1_T2_,@function
_ZN7rocprim17ROCPRIM_400000_NS6detail30init_device_scan_by_key_kernelINS1_19lookback_scan_stateINS0_5tupleIJibEEELb0ELb1EEEN6thrust23THRUST_200600_302600_NS18transform_iteratorI9row_indexNS8_17counting_iteratorImNS8_11use_defaultESC_SC_EESC_SC_EEjNS1_16block_id_wrapperIjLb0EEEEEvT_jjPNSH_10value_typeET0_PNSt15iterator_traitsISK_E10value_typeEmT1_T2_: ; @_ZN7rocprim17ROCPRIM_400000_NS6detail30init_device_scan_by_key_kernelINS1_19lookback_scan_stateINS0_5tupleIJibEEELb0ELb1EEEN6thrust23THRUST_200600_302600_NS18transform_iteratorI9row_indexNS8_17counting_iteratorImNS8_11use_defaultESC_SC_EESC_SC_EEjNS1_16block_id_wrapperIjLb0EEEEEvT_jjPNSH_10value_typeET0_PNSt15iterator_traitsISK_E10value_typeEmT1_T2_
; %bb.0:
	s_clause 0x2
	s_load_b32 s2, s[0:1], 0x4c
	s_load_b256 s[4:11], s[0:1], 0x0
	s_load_b32 s12, s[0:1], 0x40
	s_waitcnt lgkmcnt(0)
	s_and_b32 s13, s2, 0xffff
	s_cmp_eq_u64 s[8:9], 0
	v_mad_u64_u32 v[4:5], null, s15, s13, v[0:1]
	s_cbranch_scc1 .LBB1_8
; %bb.1:
	s_cmp_lt_u32 s7, s6
	s_mov_b32 s3, 0
	s_cselect_b32 s2, s7, 0
	s_mov_b32 s14, exec_lo
	s_delay_alu instid0(VALU_DEP_1)
	v_cmpx_eq_u32_e64 s2, v4
	s_cbranch_execz .LBB1_7
; %bb.2:
	s_add_i32 s2, s7, 32
	s_mov_b32 s7, exec_lo
	s_lshl_b64 s[2:3], s[2:3], 4
	v_mov_b32_e32 v6, 0
	s_add_u32 s2, s4, s2
	s_addc_u32 s3, s5, s3
	s_delay_alu instid0(SALU_CYCLE_1) | instskip(SKIP_2) | instid1(VALU_DEP_1)
	v_dual_mov_b32 v0, s2 :: v_dual_mov_b32 v1, s3
	;;#ASMSTART
	global_load_dwordx4 v[0:3], v[0:1] off glc	
s_waitcnt vmcnt(0)
	;;#ASMEND
	v_and_b32_e32 v5, 0xff, v2
	v_cmpx_eq_u64_e32 0, v[5:6]
	s_cbranch_execz .LBB1_6
; %bb.3:
	v_dual_mov_b32 v8, s3 :: v_dual_mov_b32 v7, s2
	s_mov_b32 s2, 0
.LBB1_4:                                ; =>This Inner Loop Header: Depth=1
	;;#ASMSTART
	global_load_dwordx4 v[0:3], v[7:8] off glc	
s_waitcnt vmcnt(0)
	;;#ASMEND
	v_and_b32_e32 v5, 0xff, v2
	s_delay_alu instid0(VALU_DEP_1) | instskip(SKIP_1) | instid1(SALU_CYCLE_1)
	v_cmp_ne_u64_e32 vcc_lo, 0, v[5:6]
	s_or_b32 s2, vcc_lo, s2
	s_and_not1_b32 exec_lo, exec_lo, s2
	s_cbranch_execnz .LBB1_4
; %bb.5:
	s_or_b32 exec_lo, exec_lo, s2
.LBB1_6:
	s_delay_alu instid0(SALU_CYCLE_1)
	s_or_b32 exec_lo, exec_lo, s7
	v_mov_b32_e32 v2, 0
	s_clause 0x1
	global_store_b32 v2, v0, s[8:9]
	global_store_b8 v2, v1, s[8:9] offset:4
.LBB1_7:
	s_or_b32 exec_lo, exec_lo, s14
.LBB1_8:
	s_delay_alu instid0(SALU_CYCLE_1) | instskip(NEXT) | instid1(VALU_DEP_1)
	s_mov_b32 s2, exec_lo
	v_cmpx_gt_u32_e64 s6, v4
	s_cbranch_execz .LBB1_10
; %bb.9:
	v_dual_mov_b32 v1, 0 :: v_dual_add_nc_u32 v0, 32, v4
	s_delay_alu instid0(VALU_DEP_1) | instskip(SKIP_3) | instid1(VALU_DEP_4)
	v_lshlrev_b64 v[5:6], 4, v[0:1]
	v_mov_b32_e32 v0, v1
	v_mov_b32_e32 v2, v1
	;; [unrolled: 1-line block ×3, first 2 shown]
	v_add_co_u32 v5, vcc_lo, s4, v5
	v_add_co_ci_u32_e32 v6, vcc_lo, s5, v6, vcc_lo
	global_store_b128 v[5:6], v[0:3], off
.LBB1_10:
	s_or_b32 exec_lo, exec_lo, s2
	v_mov_b32_e32 v5, 0
	s_mov_b32 s2, exec_lo
	v_cmpx_gt_u32_e32 32, v4
	s_cbranch_execz .LBB1_12
; %bb.11:
	s_delay_alu instid0(VALU_DEP_2) | instskip(SKIP_3) | instid1(VALU_DEP_4)
	v_lshlrev_b64 v[6:7], 4, v[4:5]
	v_dual_mov_b32 v2, 0xff :: v_dual_mov_b32 v1, v5
	v_mov_b32_e32 v0, v5
	v_mov_b32_e32 v3, v5
	v_add_co_u32 v6, vcc_lo, s4, v6
	v_add_co_ci_u32_e32 v7, vcc_lo, s5, v7, vcc_lo
	global_store_b128 v[6:7], v[0:3], off
.LBB1_12:
	s_or_b32 exec_lo, exec_lo, s2
	s_load_b64 s[2:3], s[0:1], 0x30
	s_mov_b32 s4, exec_lo
	s_waitcnt lgkmcnt(0)
	v_cmpx_gt_u64_e64 s[2:3], v[4:5]
	s_cbranch_execz .LBB1_19
; %bb.13:
	s_clause 0x1
	s_load_b128 s[4:7], s[0:1], 0x20
	s_load_b32 s14, s[0:1], 0x38
	s_mov_b32 s9, 0
	s_waitcnt lgkmcnt(0)
	v_cvt_f32_u32_e32 v0, s4
	v_cvt_f32_u32_e32 v1, s5
	v_cvt_f32_u32_e32 v2, s4
	s_add_i32 s0, s14, -1
	s_delay_alu instid0(SALU_CYCLE_1) | instskip(NEXT) | instid1(VALU_DEP_2)
	s_add_u32 s0, s0, s10
	v_fmamk_f32 v0, v1, 0x4f800000, v0
	s_delay_alu instid0(VALU_DEP_2) | instskip(SKIP_4) | instid1(VALU_DEP_1)
	v_rcp_iflag_f32_e32 v1, v2
	s_addc_u32 s1, 0, s11
	s_sub_i32 s8, 0, s4
	v_lshlrev_b64 v[2:3], 3, v[4:5]
	v_rcp_f32_e32 v0, v0
	v_add_co_u32 v2, vcc_lo, s6, v2
	s_waitcnt_depctr 0xfff
	v_mul_f32_e32 v1, 0x4f7ffffe, v1
	v_add_co_ci_u32_e32 v3, vcc_lo, s7, v3, vcc_lo
	v_mul_f32_e32 v6, 0x5f7ffffc, v0
	s_delay_alu instid0(VALU_DEP_1) | instskip(NEXT) | instid1(VALU_DEP_1)
	v_mul_f32_e32 v0, 0x2f800000, v6
	v_trunc_f32_e32 v8, v0
	v_mov_b32_e32 v0, 0
	v_cvt_u32_f32_e32 v1, v1
	s_delay_alu instid0(VALU_DEP_3) | instskip(SKIP_1) | instid1(VALU_DEP_3)
	v_fmamk_f32 v10, v8, 0xcf800000, v6
	v_cvt_u32_f32_e32 v11, v8
	v_mul_lo_u32 v7, s8, v1
	s_mul_i32 s8, s12, s13
	s_delay_alu instid0(VALU_DEP_3) | instskip(SKIP_2) | instid1(VALU_DEP_2)
	v_cvt_u32_f32_e32 v10, v10
	s_mul_i32 s10, s14, s8
	s_lshl_b64 s[6:7], s[8:9], 3
	v_mul_hi_u32 v9, v1, v7
	v_mad_u64_u32 v[6:7], null, s14, v4, s[0:1]
	s_mul_hi_u32 s1, s14, s8
	s_delay_alu instid0(VALU_DEP_2)
	v_add_nc_u32_e32 v12, v1, v9
	s_branch .LBB1_15
.LBB1_14:                               ;   in Loop: Header=BB1_15 Depth=1
	s_or_b32 exec_lo, exec_lo, s0
	v_add_co_u32 v4, vcc_lo, v4, s8
	v_add_co_ci_u32_e32 v5, vcc_lo, 0, v5, vcc_lo
	v_add_co_u32 v6, vcc_lo, v6, s10
	v_add_co_ci_u32_e32 v7, vcc_lo, s1, v7, vcc_lo
	s_delay_alu instid0(VALU_DEP_3) | instskip(SKIP_2) | instid1(VALU_DEP_1)
	v_cmp_le_u64_e32 vcc_lo, s[2:3], v[4:5]
	global_store_b64 v[2:3], v[8:9], off
	v_add_co_u32 v2, s0, v2, s6
	v_add_co_ci_u32_e64 v3, s0, s7, v3, s0
	s_or_b32 s9, vcc_lo, s9
	s_delay_alu instid0(SALU_CYCLE_1)
	s_and_not1_b32 exec_lo, exec_lo, s9
	s_cbranch_execz .LBB1_19
.LBB1_15:                               ; =>This Inner Loop Header: Depth=1
	s_delay_alu instid0(VALU_DEP_2) | instskip(SKIP_1) | instid1(VALU_DEP_1)
	v_or_b32_e32 v1, s5, v7
                                        ; implicit-def: $vgpr8_vgpr9
	s_mov_b32 s0, exec_lo
	v_cmpx_ne_u64_e32 0, v[0:1]
	s_xor_b32 s11, exec_lo, s0
	s_cbranch_execz .LBB1_17
; %bb.16:                               ;   in Loop: Header=BB1_15 Depth=1
	s_sub_u32 s0, 0, s4
	s_subb_u32 s12, 0, s5
	v_mul_hi_u32 v1, s0, v10
	v_mul_lo_u32 v8, s0, v11
	v_mul_lo_u32 v9, s12, v10
	s_delay_alu instid0(VALU_DEP_2) | instskip(SKIP_1) | instid1(VALU_DEP_2)
	v_add_nc_u32_e32 v1, v1, v8
	v_mul_lo_u32 v8, s0, v10
	v_add_nc_u32_e32 v1, v1, v9
	s_delay_alu instid0(VALU_DEP_2) | instskip(NEXT) | instid1(VALU_DEP_2)
	v_mul_hi_u32 v9, v10, v8
	v_mul_lo_u32 v13, v10, v1
	v_mul_hi_u32 v14, v10, v1
	v_mul_hi_u32 v15, v11, v8
	v_mul_lo_u32 v8, v11, v8
	v_mul_hi_u32 v16, v11, v1
	v_mul_lo_u32 v1, v11, v1
	v_add_co_u32 v9, vcc_lo, v9, v13
	v_add_co_ci_u32_e32 v13, vcc_lo, 0, v14, vcc_lo
	s_delay_alu instid0(VALU_DEP_2) | instskip(NEXT) | instid1(VALU_DEP_2)
	v_add_co_u32 v8, vcc_lo, v9, v8
	v_add_co_ci_u32_e32 v8, vcc_lo, v13, v15, vcc_lo
	v_add_co_ci_u32_e32 v9, vcc_lo, 0, v16, vcc_lo
	s_delay_alu instid0(VALU_DEP_2) | instskip(NEXT) | instid1(VALU_DEP_2)
	v_add_co_u32 v1, vcc_lo, v8, v1
	v_add_co_ci_u32_e32 v8, vcc_lo, 0, v9, vcc_lo
	s_delay_alu instid0(VALU_DEP_2) | instskip(NEXT) | instid1(VALU_DEP_2)
	v_add_co_u32 v1, vcc_lo, v10, v1
	v_add_co_ci_u32_e32 v8, vcc_lo, v11, v8, vcc_lo
	s_delay_alu instid0(VALU_DEP_2) | instskip(SKIP_1) | instid1(VALU_DEP_3)
	v_mul_hi_u32 v9, s0, v1
	v_mul_lo_u32 v14, s12, v1
	v_mul_lo_u32 v13, s0, v8
	s_delay_alu instid0(VALU_DEP_1) | instskip(SKIP_1) | instid1(VALU_DEP_2)
	v_add_nc_u32_e32 v9, v9, v13
	v_mul_lo_u32 v13, s0, v1
	v_add_nc_u32_e32 v9, v9, v14
	s_delay_alu instid0(VALU_DEP_2) | instskip(NEXT) | instid1(VALU_DEP_2)
	v_mul_hi_u32 v14, v1, v13
	v_mul_lo_u32 v15, v1, v9
	v_mul_hi_u32 v16, v1, v9
	v_mul_hi_u32 v17, v8, v13
	v_mul_lo_u32 v13, v8, v13
	v_mul_hi_u32 v18, v8, v9
	v_mul_lo_u32 v9, v8, v9
	v_add_co_u32 v14, vcc_lo, v14, v15
	v_add_co_ci_u32_e32 v15, vcc_lo, 0, v16, vcc_lo
	s_delay_alu instid0(VALU_DEP_2) | instskip(NEXT) | instid1(VALU_DEP_2)
	v_add_co_u32 v13, vcc_lo, v14, v13
	v_add_co_ci_u32_e32 v13, vcc_lo, v15, v17, vcc_lo
	v_add_co_ci_u32_e32 v14, vcc_lo, 0, v18, vcc_lo
	s_delay_alu instid0(VALU_DEP_2) | instskip(NEXT) | instid1(VALU_DEP_2)
	v_add_co_u32 v9, vcc_lo, v13, v9
	v_add_co_ci_u32_e32 v13, vcc_lo, 0, v14, vcc_lo
	s_delay_alu instid0(VALU_DEP_2) | instskip(NEXT) | instid1(VALU_DEP_2)
	v_add_co_u32 v1, vcc_lo, v1, v9
	v_add_co_ci_u32_e32 v17, vcc_lo, v8, v13, vcc_lo
	s_delay_alu instid0(VALU_DEP_2) | instskip(SKIP_1) | instid1(VALU_DEP_3)
	v_mul_hi_u32 v18, v6, v1
	v_mad_u64_u32 v[13:14], null, v7, v1, 0
	v_mad_u64_u32 v[8:9], null, v6, v17, 0
	;; [unrolled: 1-line block ×3, first 2 shown]
	s_delay_alu instid0(VALU_DEP_2) | instskip(NEXT) | instid1(VALU_DEP_3)
	v_add_co_u32 v1, vcc_lo, v18, v8
	v_add_co_ci_u32_e32 v8, vcc_lo, 0, v9, vcc_lo
	s_delay_alu instid0(VALU_DEP_2) | instskip(NEXT) | instid1(VALU_DEP_2)
	v_add_co_u32 v1, vcc_lo, v1, v13
	v_add_co_ci_u32_e32 v1, vcc_lo, v8, v14, vcc_lo
	v_add_co_ci_u32_e32 v8, vcc_lo, 0, v16, vcc_lo
	s_delay_alu instid0(VALU_DEP_2) | instskip(NEXT) | instid1(VALU_DEP_2)
	v_add_co_u32 v1, vcc_lo, v1, v15
	v_add_co_ci_u32_e32 v13, vcc_lo, 0, v8, vcc_lo
	s_delay_alu instid0(VALU_DEP_2) | instskip(SKIP_1) | instid1(VALU_DEP_3)
	v_mul_lo_u32 v14, s5, v1
	v_mad_u64_u32 v[8:9], null, s4, v1, 0
	v_mul_lo_u32 v15, s4, v13
	s_delay_alu instid0(VALU_DEP_2) | instskip(NEXT) | instid1(VALU_DEP_2)
	v_sub_co_u32 v8, vcc_lo, v6, v8
	v_add3_u32 v9, v9, v15, v14
	s_delay_alu instid0(VALU_DEP_1) | instskip(NEXT) | instid1(VALU_DEP_1)
	v_sub_nc_u32_e32 v14, v7, v9
	v_subrev_co_ci_u32_e64 v14, s0, s5, v14, vcc_lo
	v_add_co_u32 v15, s0, v1, 2
	s_delay_alu instid0(VALU_DEP_1) | instskip(SKIP_3) | instid1(VALU_DEP_3)
	v_add_co_ci_u32_e64 v16, s0, 0, v13, s0
	v_sub_co_u32 v17, s0, v8, s4
	v_sub_co_ci_u32_e32 v9, vcc_lo, v7, v9, vcc_lo
	v_subrev_co_ci_u32_e64 v14, s0, 0, v14, s0
	v_cmp_le_u32_e32 vcc_lo, s4, v17
	s_delay_alu instid0(VALU_DEP_3) | instskip(SKIP_1) | instid1(VALU_DEP_4)
	v_cmp_eq_u32_e64 s0, s5, v9
	v_cndmask_b32_e64 v17, 0, -1, vcc_lo
	v_cmp_le_u32_e32 vcc_lo, s5, v14
	v_cndmask_b32_e64 v18, 0, -1, vcc_lo
	v_cmp_le_u32_e32 vcc_lo, s4, v8
	;; [unrolled: 2-line block ×3, first 2 shown]
	v_cndmask_b32_e64 v19, 0, -1, vcc_lo
	v_cmp_eq_u32_e32 vcc_lo, s5, v14
	s_delay_alu instid0(VALU_DEP_2) | instskip(SKIP_3) | instid1(VALU_DEP_3)
	v_cndmask_b32_e64 v8, v19, v8, s0
	v_cndmask_b32_e32 v14, v18, v17, vcc_lo
	v_add_co_u32 v17, vcc_lo, v1, 1
	v_add_co_ci_u32_e32 v18, vcc_lo, 0, v13, vcc_lo
	v_cmp_ne_u32_e32 vcc_lo, 0, v14
	s_delay_alu instid0(VALU_DEP_2) | instskip(SKIP_1) | instid1(VALU_DEP_2)
	v_dual_cndmask_b32 v9, v18, v16 :: v_dual_cndmask_b32 v14, v17, v15
	v_cmp_ne_u32_e32 vcc_lo, 0, v8
	v_cndmask_b32_e32 v9, v13, v9, vcc_lo
	s_delay_alu instid0(VALU_DEP_3)
	v_cndmask_b32_e32 v8, v1, v14, vcc_lo
.LBB1_17:                               ;   in Loop: Header=BB1_15 Depth=1
	s_and_not1_saveexec_b32 s0, s11
	s_cbranch_execz .LBB1_14
; %bb.18:                               ;   in Loop: Header=BB1_15 Depth=1
	v_mul_hi_u32 v1, v6, v12
	s_delay_alu instid0(VALU_DEP_1) | instskip(SKIP_1) | instid1(VALU_DEP_2)
	v_mul_lo_u32 v8, v1, s4
	v_add_nc_u32_e32 v9, 1, v1
	v_sub_nc_u32_e32 v8, v6, v8
	s_delay_alu instid0(VALU_DEP_1) | instskip(SKIP_1) | instid1(VALU_DEP_2)
	v_subrev_nc_u32_e32 v13, s4, v8
	v_cmp_le_u32_e32 vcc_lo, s4, v8
	v_cndmask_b32_e32 v8, v8, v13, vcc_lo
	v_cndmask_b32_e32 v1, v1, v9, vcc_lo
	s_delay_alu instid0(VALU_DEP_2) | instskip(NEXT) | instid1(VALU_DEP_2)
	v_cmp_le_u32_e32 vcc_lo, s4, v8
	v_add_nc_u32_e32 v9, 1, v1
	s_delay_alu instid0(VALU_DEP_1)
	v_dual_cndmask_b32 v8, v1, v9 :: v_dual_mov_b32 v9, v0
	s_branch .LBB1_14
.LBB1_19:
	s_nop 0
	s_sendmsg sendmsg(MSG_DEALLOC_VGPRS)
	s_endpgm
	.section	.rodata,"a",@progbits
	.p2align	6, 0x0
	.amdhsa_kernel _ZN7rocprim17ROCPRIM_400000_NS6detail30init_device_scan_by_key_kernelINS1_19lookback_scan_stateINS0_5tupleIJibEEELb0ELb1EEEN6thrust23THRUST_200600_302600_NS18transform_iteratorI9row_indexNS8_17counting_iteratorImNS8_11use_defaultESC_SC_EESC_SC_EEjNS1_16block_id_wrapperIjLb0EEEEEvT_jjPNSH_10value_typeET0_PNSt15iterator_traitsISK_E10value_typeEmT1_T2_
		.amdhsa_group_segment_fixed_size 0
		.amdhsa_private_segment_fixed_size 0
		.amdhsa_kernarg_size 320
		.amdhsa_user_sgpr_count 15
		.amdhsa_user_sgpr_dispatch_ptr 0
		.amdhsa_user_sgpr_queue_ptr 0
		.amdhsa_user_sgpr_kernarg_segment_ptr 1
		.amdhsa_user_sgpr_dispatch_id 0
		.amdhsa_user_sgpr_private_segment_size 0
		.amdhsa_wavefront_size32 1
		.amdhsa_uses_dynamic_stack 0
		.amdhsa_enable_private_segment 0
		.amdhsa_system_sgpr_workgroup_id_x 1
		.amdhsa_system_sgpr_workgroup_id_y 0
		.amdhsa_system_sgpr_workgroup_id_z 0
		.amdhsa_system_sgpr_workgroup_info 0
		.amdhsa_system_vgpr_workitem_id 0
		.amdhsa_next_free_vgpr 20
		.amdhsa_next_free_sgpr 16
		.amdhsa_reserve_vcc 1
		.amdhsa_float_round_mode_32 0
		.amdhsa_float_round_mode_16_64 0
		.amdhsa_float_denorm_mode_32 3
		.amdhsa_float_denorm_mode_16_64 3
		.amdhsa_dx10_clamp 1
		.amdhsa_ieee_mode 1
		.amdhsa_fp16_overflow 0
		.amdhsa_workgroup_processor_mode 1
		.amdhsa_memory_ordered 1
		.amdhsa_forward_progress 0
		.amdhsa_shared_vgpr_count 0
		.amdhsa_exception_fp_ieee_invalid_op 0
		.amdhsa_exception_fp_denorm_src 0
		.amdhsa_exception_fp_ieee_div_zero 0
		.amdhsa_exception_fp_ieee_overflow 0
		.amdhsa_exception_fp_ieee_underflow 0
		.amdhsa_exception_fp_ieee_inexact 0
		.amdhsa_exception_int_div_zero 0
	.end_amdhsa_kernel
	.section	.text._ZN7rocprim17ROCPRIM_400000_NS6detail30init_device_scan_by_key_kernelINS1_19lookback_scan_stateINS0_5tupleIJibEEELb0ELb1EEEN6thrust23THRUST_200600_302600_NS18transform_iteratorI9row_indexNS8_17counting_iteratorImNS8_11use_defaultESC_SC_EESC_SC_EEjNS1_16block_id_wrapperIjLb0EEEEEvT_jjPNSH_10value_typeET0_PNSt15iterator_traitsISK_E10value_typeEmT1_T2_,"axG",@progbits,_ZN7rocprim17ROCPRIM_400000_NS6detail30init_device_scan_by_key_kernelINS1_19lookback_scan_stateINS0_5tupleIJibEEELb0ELb1EEEN6thrust23THRUST_200600_302600_NS18transform_iteratorI9row_indexNS8_17counting_iteratorImNS8_11use_defaultESC_SC_EESC_SC_EEjNS1_16block_id_wrapperIjLb0EEEEEvT_jjPNSH_10value_typeET0_PNSt15iterator_traitsISK_E10value_typeEmT1_T2_,comdat
.Lfunc_end1:
	.size	_ZN7rocprim17ROCPRIM_400000_NS6detail30init_device_scan_by_key_kernelINS1_19lookback_scan_stateINS0_5tupleIJibEEELb0ELb1EEEN6thrust23THRUST_200600_302600_NS18transform_iteratorI9row_indexNS8_17counting_iteratorImNS8_11use_defaultESC_SC_EESC_SC_EEjNS1_16block_id_wrapperIjLb0EEEEEvT_jjPNSH_10value_typeET0_PNSt15iterator_traitsISK_E10value_typeEmT1_T2_, .Lfunc_end1-_ZN7rocprim17ROCPRIM_400000_NS6detail30init_device_scan_by_key_kernelINS1_19lookback_scan_stateINS0_5tupleIJibEEELb0ELb1EEEN6thrust23THRUST_200600_302600_NS18transform_iteratorI9row_indexNS8_17counting_iteratorImNS8_11use_defaultESC_SC_EESC_SC_EEjNS1_16block_id_wrapperIjLb0EEEEEvT_jjPNSH_10value_typeET0_PNSt15iterator_traitsISK_E10value_typeEmT1_T2_
                                        ; -- End function
	.section	.AMDGPU.csdata,"",@progbits
; Kernel info:
; codeLenInByte = 1556
; NumSgprs: 18
; NumVgprs: 20
; ScratchSize: 0
; MemoryBound: 0
; FloatMode: 240
; IeeeMode: 1
; LDSByteSize: 0 bytes/workgroup (compile time only)
; SGPRBlocks: 2
; VGPRBlocks: 2
; NumSGPRsForWavesPerEU: 18
; NumVGPRsForWavesPerEU: 20
; Occupancy: 16
; WaveLimiterHint : 0
; COMPUTE_PGM_RSRC2:SCRATCH_EN: 0
; COMPUTE_PGM_RSRC2:USER_SGPR: 15
; COMPUTE_PGM_RSRC2:TRAP_HANDLER: 0
; COMPUTE_PGM_RSRC2:TGID_X_EN: 1
; COMPUTE_PGM_RSRC2:TGID_Y_EN: 0
; COMPUTE_PGM_RSRC2:TGID_Z_EN: 0
; COMPUTE_PGM_RSRC2:TIDIG_COMP_CNT: 0
	.section	.text._ZN7rocprim17ROCPRIM_400000_NS6detail30init_device_scan_by_key_kernelINS1_19lookback_scan_stateINS0_5tupleIJibEEELb0ELb1EEENS1_16block_id_wrapperIjLb0EEEEEvT_jjPNS9_10value_typeET0_,"axG",@progbits,_ZN7rocprim17ROCPRIM_400000_NS6detail30init_device_scan_by_key_kernelINS1_19lookback_scan_stateINS0_5tupleIJibEEELb0ELb1EEENS1_16block_id_wrapperIjLb0EEEEEvT_jjPNS9_10value_typeET0_,comdat
	.protected	_ZN7rocprim17ROCPRIM_400000_NS6detail30init_device_scan_by_key_kernelINS1_19lookback_scan_stateINS0_5tupleIJibEEELb0ELb1EEENS1_16block_id_wrapperIjLb0EEEEEvT_jjPNS9_10value_typeET0_ ; -- Begin function _ZN7rocprim17ROCPRIM_400000_NS6detail30init_device_scan_by_key_kernelINS1_19lookback_scan_stateINS0_5tupleIJibEEELb0ELb1EEENS1_16block_id_wrapperIjLb0EEEEEvT_jjPNS9_10value_typeET0_
	.globl	_ZN7rocprim17ROCPRIM_400000_NS6detail30init_device_scan_by_key_kernelINS1_19lookback_scan_stateINS0_5tupleIJibEEELb0ELb1EEENS1_16block_id_wrapperIjLb0EEEEEvT_jjPNS9_10value_typeET0_
	.p2align	8
	.type	_ZN7rocprim17ROCPRIM_400000_NS6detail30init_device_scan_by_key_kernelINS1_19lookback_scan_stateINS0_5tupleIJibEEELb0ELb1EEENS1_16block_id_wrapperIjLb0EEEEEvT_jjPNS9_10value_typeET0_,@function
_ZN7rocprim17ROCPRIM_400000_NS6detail30init_device_scan_by_key_kernelINS1_19lookback_scan_stateINS0_5tupleIJibEEELb0ELb1EEENS1_16block_id_wrapperIjLb0EEEEEvT_jjPNS9_10value_typeET0_: ; @_ZN7rocprim17ROCPRIM_400000_NS6detail30init_device_scan_by_key_kernelINS1_19lookback_scan_stateINS0_5tupleIJibEEELb0ELb1EEENS1_16block_id_wrapperIjLb0EEEEEvT_jjPNS9_10value_typeET0_
; %bb.0:
	s_clause 0x2
	s_load_b32 s6, s[0:1], 0x2c
	s_load_b64 s[4:5], s[0:1], 0x10
	s_load_b128 s[0:3], s[0:1], 0x0
	s_waitcnt lgkmcnt(0)
	s_and_b32 s6, s6, 0xffff
	s_cmp_eq_u64 s[4:5], 0
	v_mad_u64_u32 v[1:2], null, s15, s6, v[0:1]
	s_cbranch_scc1 .LBB2_8
; %bb.1:
	s_cmp_lt_u32 s3, s2
	s_mov_b32 s7, 0
	s_cselect_b32 s6, s3, 0
	s_mov_b32 s8, exec_lo
	s_delay_alu instid0(VALU_DEP_1)
	v_cmpx_eq_u32_e64 s6, v1
	s_cbranch_execz .LBB2_7
; %bb.2:
	s_add_i32 s6, s3, 32
	s_mov_b32 s3, exec_lo
	s_lshl_b64 s[6:7], s[6:7], 4
	v_mov_b32_e32 v6, 0
	s_add_u32 s6, s0, s6
	s_addc_u32 s7, s1, s7
	s_delay_alu instid0(SALU_CYCLE_1) | instskip(SKIP_2) | instid1(VALU_DEP_1)
	v_dual_mov_b32 v2, s6 :: v_dual_mov_b32 v3, s7
	;;#ASMSTART
	global_load_dwordx4 v[2:5], v[2:3] off glc	
s_waitcnt vmcnt(0)
	;;#ASMEND
	v_and_b32_e32 v5, 0xff, v4
	v_cmpx_eq_u64_e32 0, v[5:6]
	s_cbranch_execz .LBB2_6
; %bb.3:
	v_dual_mov_b32 v8, s7 :: v_dual_mov_b32 v7, s6
	s_mov_b32 s6, 0
.LBB2_4:                                ; =>This Inner Loop Header: Depth=1
	;;#ASMSTART
	global_load_dwordx4 v[2:5], v[7:8] off glc	
s_waitcnt vmcnt(0)
	;;#ASMEND
	v_and_b32_e32 v5, 0xff, v4
	s_delay_alu instid0(VALU_DEP_1) | instskip(SKIP_1) | instid1(SALU_CYCLE_1)
	v_cmp_ne_u64_e32 vcc_lo, 0, v[5:6]
	s_or_b32 s6, vcc_lo, s6
	s_and_not1_b32 exec_lo, exec_lo, s6
	s_cbranch_execnz .LBB2_4
; %bb.5:
	s_or_b32 exec_lo, exec_lo, s6
.LBB2_6:
	s_delay_alu instid0(SALU_CYCLE_1)
	s_or_b32 exec_lo, exec_lo, s3
	v_mov_b32_e32 v0, 0
	s_clause 0x1
	global_store_b32 v0, v2, s[4:5]
	global_store_b8 v0, v3, s[4:5] offset:4
.LBB2_7:
	s_or_b32 exec_lo, exec_lo, s8
.LBB2_8:
	s_delay_alu instid0(VALU_DEP_1)
	v_cmp_gt_u32_e32 vcc_lo, s2, v1
	s_and_saveexec_b32 s2, vcc_lo
	s_cbranch_execz .LBB2_10
; %bb.9:
	v_dual_mov_b32 v3, 0 :: v_dual_add_nc_u32 v2, 32, v1
	s_delay_alu instid0(VALU_DEP_1) | instskip(SKIP_2) | instid1(VALU_DEP_3)
	v_lshlrev_b64 v[5:6], 4, v[2:3]
	v_mov_b32_e32 v2, v3
	v_mov_b32_e32 v4, v3
	v_add_co_u32 v7, vcc_lo, s0, v5
	s_delay_alu instid0(VALU_DEP_4)
	v_add_co_ci_u32_e32 v8, vcc_lo, s1, v6, vcc_lo
	v_mov_b32_e32 v5, v3
	global_store_b128 v[7:8], v[2:5], off
.LBB2_10:
	s_or_b32 exec_lo, exec_lo, s2
	s_delay_alu instid0(SALU_CYCLE_1)
	s_mov_b32 s2, exec_lo
	v_cmpx_gt_u32_e32 32, v1
	s_cbranch_execz .LBB2_12
; %bb.11:
	v_dual_mov_b32 v2, 0 :: v_dual_mov_b32 v3, 0xff
	s_delay_alu instid0(VALU_DEP_1) | instskip(SKIP_1) | instid1(VALU_DEP_2)
	v_lshlrev_b64 v[4:5], 4, v[1:2]
	v_mov_b32_e32 v1, v2
	v_add_co_u32 v6, vcc_lo, s0, v4
	s_delay_alu instid0(VALU_DEP_3)
	v_add_co_ci_u32_e32 v7, vcc_lo, s1, v5, vcc_lo
	v_mov_b32_e32 v4, v2
	global_store_b128 v[6:7], v[1:4], off
.LBB2_12:
	s_nop 0
	s_sendmsg sendmsg(MSG_DEALLOC_VGPRS)
	s_endpgm
	.section	.rodata,"a",@progbits
	.p2align	6, 0x0
	.amdhsa_kernel _ZN7rocprim17ROCPRIM_400000_NS6detail30init_device_scan_by_key_kernelINS1_19lookback_scan_stateINS0_5tupleIJibEEELb0ELb1EEENS1_16block_id_wrapperIjLb0EEEEEvT_jjPNS9_10value_typeET0_
		.amdhsa_group_segment_fixed_size 0
		.amdhsa_private_segment_fixed_size 0
		.amdhsa_kernarg_size 288
		.amdhsa_user_sgpr_count 15
		.amdhsa_user_sgpr_dispatch_ptr 0
		.amdhsa_user_sgpr_queue_ptr 0
		.amdhsa_user_sgpr_kernarg_segment_ptr 1
		.amdhsa_user_sgpr_dispatch_id 0
		.amdhsa_user_sgpr_private_segment_size 0
		.amdhsa_wavefront_size32 1
		.amdhsa_uses_dynamic_stack 0
		.amdhsa_enable_private_segment 0
		.amdhsa_system_sgpr_workgroup_id_x 1
		.amdhsa_system_sgpr_workgroup_id_y 0
		.amdhsa_system_sgpr_workgroup_id_z 0
		.amdhsa_system_sgpr_workgroup_info 0
		.amdhsa_system_vgpr_workitem_id 0
		.amdhsa_next_free_vgpr 9
		.amdhsa_next_free_sgpr 16
		.amdhsa_reserve_vcc 1
		.amdhsa_float_round_mode_32 0
		.amdhsa_float_round_mode_16_64 0
		.amdhsa_float_denorm_mode_32 3
		.amdhsa_float_denorm_mode_16_64 3
		.amdhsa_dx10_clamp 1
		.amdhsa_ieee_mode 1
		.amdhsa_fp16_overflow 0
		.amdhsa_workgroup_processor_mode 1
		.amdhsa_memory_ordered 1
		.amdhsa_forward_progress 0
		.amdhsa_shared_vgpr_count 0
		.amdhsa_exception_fp_ieee_invalid_op 0
		.amdhsa_exception_fp_denorm_src 0
		.amdhsa_exception_fp_ieee_div_zero 0
		.amdhsa_exception_fp_ieee_overflow 0
		.amdhsa_exception_fp_ieee_underflow 0
		.amdhsa_exception_fp_ieee_inexact 0
		.amdhsa_exception_int_div_zero 0
	.end_amdhsa_kernel
	.section	.text._ZN7rocprim17ROCPRIM_400000_NS6detail30init_device_scan_by_key_kernelINS1_19lookback_scan_stateINS0_5tupleIJibEEELb0ELb1EEENS1_16block_id_wrapperIjLb0EEEEEvT_jjPNS9_10value_typeET0_,"axG",@progbits,_ZN7rocprim17ROCPRIM_400000_NS6detail30init_device_scan_by_key_kernelINS1_19lookback_scan_stateINS0_5tupleIJibEEELb0ELb1EEENS1_16block_id_wrapperIjLb0EEEEEvT_jjPNS9_10value_typeET0_,comdat
.Lfunc_end2:
	.size	_ZN7rocprim17ROCPRIM_400000_NS6detail30init_device_scan_by_key_kernelINS1_19lookback_scan_stateINS0_5tupleIJibEEELb0ELb1EEENS1_16block_id_wrapperIjLb0EEEEEvT_jjPNS9_10value_typeET0_, .Lfunc_end2-_ZN7rocprim17ROCPRIM_400000_NS6detail30init_device_scan_by_key_kernelINS1_19lookback_scan_stateINS0_5tupleIJibEEELb0ELb1EEENS1_16block_id_wrapperIjLb0EEEEEvT_jjPNS9_10value_typeET0_
                                        ; -- End function
	.section	.AMDGPU.csdata,"",@progbits
; Kernel info:
; codeLenInByte = 460
; NumSgprs: 18
; NumVgprs: 9
; ScratchSize: 0
; MemoryBound: 0
; FloatMode: 240
; IeeeMode: 1
; LDSByteSize: 0 bytes/workgroup (compile time only)
; SGPRBlocks: 2
; VGPRBlocks: 1
; NumSGPRsForWavesPerEU: 18
; NumVGPRsForWavesPerEU: 9
; Occupancy: 16
; WaveLimiterHint : 0
; COMPUTE_PGM_RSRC2:SCRATCH_EN: 0
; COMPUTE_PGM_RSRC2:USER_SGPR: 15
; COMPUTE_PGM_RSRC2:TRAP_HANDLER: 0
; COMPUTE_PGM_RSRC2:TGID_X_EN: 1
; COMPUTE_PGM_RSRC2:TGID_Y_EN: 0
; COMPUTE_PGM_RSRC2:TGID_Z_EN: 0
; COMPUTE_PGM_RSRC2:TIDIG_COMP_CNT: 0
	.section	.text._ZN7rocprim17ROCPRIM_400000_NS6detail17trampoline_kernelINS0_14default_configENS1_27scan_by_key_config_selectorImiEEZZNS1_16scan_by_key_implILNS1_25lookback_scan_determinismE0ELb0ES3_N6thrust23THRUST_200600_302600_NS18transform_iteratorI9row_indexNS9_17counting_iteratorImNS9_11use_defaultESD_SD_EESD_SD_EENS9_6detail15normal_iteratorINS9_10device_ptrIiEEEESK_iNS9_4plusIvEENS9_8equal_toIvEEiEE10hipError_tPvRmT2_T3_T4_T5_mT6_T7_P12ihipStream_tbENKUlT_T0_E_clISt17integral_constantIbLb0EES15_EEDaS10_S11_EUlS10_E_NS1_11comp_targetILNS1_3genE0ELNS1_11target_archE4294967295ELNS1_3gpuE0ELNS1_3repE0EEENS1_30default_config_static_selectorELNS0_4arch9wavefront6targetE0EEEvT1_,"axG",@progbits,_ZN7rocprim17ROCPRIM_400000_NS6detail17trampoline_kernelINS0_14default_configENS1_27scan_by_key_config_selectorImiEEZZNS1_16scan_by_key_implILNS1_25lookback_scan_determinismE0ELb0ES3_N6thrust23THRUST_200600_302600_NS18transform_iteratorI9row_indexNS9_17counting_iteratorImNS9_11use_defaultESD_SD_EESD_SD_EENS9_6detail15normal_iteratorINS9_10device_ptrIiEEEESK_iNS9_4plusIvEENS9_8equal_toIvEEiEE10hipError_tPvRmT2_T3_T4_T5_mT6_T7_P12ihipStream_tbENKUlT_T0_E_clISt17integral_constantIbLb0EES15_EEDaS10_S11_EUlS10_E_NS1_11comp_targetILNS1_3genE0ELNS1_11target_archE4294967295ELNS1_3gpuE0ELNS1_3repE0EEENS1_30default_config_static_selectorELNS0_4arch9wavefront6targetE0EEEvT1_,comdat
	.protected	_ZN7rocprim17ROCPRIM_400000_NS6detail17trampoline_kernelINS0_14default_configENS1_27scan_by_key_config_selectorImiEEZZNS1_16scan_by_key_implILNS1_25lookback_scan_determinismE0ELb0ES3_N6thrust23THRUST_200600_302600_NS18transform_iteratorI9row_indexNS9_17counting_iteratorImNS9_11use_defaultESD_SD_EESD_SD_EENS9_6detail15normal_iteratorINS9_10device_ptrIiEEEESK_iNS9_4plusIvEENS9_8equal_toIvEEiEE10hipError_tPvRmT2_T3_T4_T5_mT6_T7_P12ihipStream_tbENKUlT_T0_E_clISt17integral_constantIbLb0EES15_EEDaS10_S11_EUlS10_E_NS1_11comp_targetILNS1_3genE0ELNS1_11target_archE4294967295ELNS1_3gpuE0ELNS1_3repE0EEENS1_30default_config_static_selectorELNS0_4arch9wavefront6targetE0EEEvT1_ ; -- Begin function _ZN7rocprim17ROCPRIM_400000_NS6detail17trampoline_kernelINS0_14default_configENS1_27scan_by_key_config_selectorImiEEZZNS1_16scan_by_key_implILNS1_25lookback_scan_determinismE0ELb0ES3_N6thrust23THRUST_200600_302600_NS18transform_iteratorI9row_indexNS9_17counting_iteratorImNS9_11use_defaultESD_SD_EESD_SD_EENS9_6detail15normal_iteratorINS9_10device_ptrIiEEEESK_iNS9_4plusIvEENS9_8equal_toIvEEiEE10hipError_tPvRmT2_T3_T4_T5_mT6_T7_P12ihipStream_tbENKUlT_T0_E_clISt17integral_constantIbLb0EES15_EEDaS10_S11_EUlS10_E_NS1_11comp_targetILNS1_3genE0ELNS1_11target_archE4294967295ELNS1_3gpuE0ELNS1_3repE0EEENS1_30default_config_static_selectorELNS0_4arch9wavefront6targetE0EEEvT1_
	.globl	_ZN7rocprim17ROCPRIM_400000_NS6detail17trampoline_kernelINS0_14default_configENS1_27scan_by_key_config_selectorImiEEZZNS1_16scan_by_key_implILNS1_25lookback_scan_determinismE0ELb0ES3_N6thrust23THRUST_200600_302600_NS18transform_iteratorI9row_indexNS9_17counting_iteratorImNS9_11use_defaultESD_SD_EESD_SD_EENS9_6detail15normal_iteratorINS9_10device_ptrIiEEEESK_iNS9_4plusIvEENS9_8equal_toIvEEiEE10hipError_tPvRmT2_T3_T4_T5_mT6_T7_P12ihipStream_tbENKUlT_T0_E_clISt17integral_constantIbLb0EES15_EEDaS10_S11_EUlS10_E_NS1_11comp_targetILNS1_3genE0ELNS1_11target_archE4294967295ELNS1_3gpuE0ELNS1_3repE0EEENS1_30default_config_static_selectorELNS0_4arch9wavefront6targetE0EEEvT1_
	.p2align	8
	.type	_ZN7rocprim17ROCPRIM_400000_NS6detail17trampoline_kernelINS0_14default_configENS1_27scan_by_key_config_selectorImiEEZZNS1_16scan_by_key_implILNS1_25lookback_scan_determinismE0ELb0ES3_N6thrust23THRUST_200600_302600_NS18transform_iteratorI9row_indexNS9_17counting_iteratorImNS9_11use_defaultESD_SD_EESD_SD_EENS9_6detail15normal_iteratorINS9_10device_ptrIiEEEESK_iNS9_4plusIvEENS9_8equal_toIvEEiEE10hipError_tPvRmT2_T3_T4_T5_mT6_T7_P12ihipStream_tbENKUlT_T0_E_clISt17integral_constantIbLb0EES15_EEDaS10_S11_EUlS10_E_NS1_11comp_targetILNS1_3genE0ELNS1_11target_archE4294967295ELNS1_3gpuE0ELNS1_3repE0EEENS1_30default_config_static_selectorELNS0_4arch9wavefront6targetE0EEEvT1_,@function
_ZN7rocprim17ROCPRIM_400000_NS6detail17trampoline_kernelINS0_14default_configENS1_27scan_by_key_config_selectorImiEEZZNS1_16scan_by_key_implILNS1_25lookback_scan_determinismE0ELb0ES3_N6thrust23THRUST_200600_302600_NS18transform_iteratorI9row_indexNS9_17counting_iteratorImNS9_11use_defaultESD_SD_EESD_SD_EENS9_6detail15normal_iteratorINS9_10device_ptrIiEEEESK_iNS9_4plusIvEENS9_8equal_toIvEEiEE10hipError_tPvRmT2_T3_T4_T5_mT6_T7_P12ihipStream_tbENKUlT_T0_E_clISt17integral_constantIbLb0EES15_EEDaS10_S11_EUlS10_E_NS1_11comp_targetILNS1_3genE0ELNS1_11target_archE4294967295ELNS1_3gpuE0ELNS1_3repE0EEENS1_30default_config_static_selectorELNS0_4arch9wavefront6targetE0EEEvT1_: ; @_ZN7rocprim17ROCPRIM_400000_NS6detail17trampoline_kernelINS0_14default_configENS1_27scan_by_key_config_selectorImiEEZZNS1_16scan_by_key_implILNS1_25lookback_scan_determinismE0ELb0ES3_N6thrust23THRUST_200600_302600_NS18transform_iteratorI9row_indexNS9_17counting_iteratorImNS9_11use_defaultESD_SD_EESD_SD_EENS9_6detail15normal_iteratorINS9_10device_ptrIiEEEESK_iNS9_4plusIvEENS9_8equal_toIvEEiEE10hipError_tPvRmT2_T3_T4_T5_mT6_T7_P12ihipStream_tbENKUlT_T0_E_clISt17integral_constantIbLb0EES15_EEDaS10_S11_EUlS10_E_NS1_11comp_targetILNS1_3genE0ELNS1_11target_archE4294967295ELNS1_3gpuE0ELNS1_3repE0EEENS1_30default_config_static_selectorELNS0_4arch9wavefront6targetE0EEEvT1_
; %bb.0:
	.section	.rodata,"a",@progbits
	.p2align	6, 0x0
	.amdhsa_kernel _ZN7rocprim17ROCPRIM_400000_NS6detail17trampoline_kernelINS0_14default_configENS1_27scan_by_key_config_selectorImiEEZZNS1_16scan_by_key_implILNS1_25lookback_scan_determinismE0ELb0ES3_N6thrust23THRUST_200600_302600_NS18transform_iteratorI9row_indexNS9_17counting_iteratorImNS9_11use_defaultESD_SD_EESD_SD_EENS9_6detail15normal_iteratorINS9_10device_ptrIiEEEESK_iNS9_4plusIvEENS9_8equal_toIvEEiEE10hipError_tPvRmT2_T3_T4_T5_mT6_T7_P12ihipStream_tbENKUlT_T0_E_clISt17integral_constantIbLb0EES15_EEDaS10_S11_EUlS10_E_NS1_11comp_targetILNS1_3genE0ELNS1_11target_archE4294967295ELNS1_3gpuE0ELNS1_3repE0EEENS1_30default_config_static_selectorELNS0_4arch9wavefront6targetE0EEEvT1_
		.amdhsa_group_segment_fixed_size 0
		.amdhsa_private_segment_fixed_size 0
		.amdhsa_kernarg_size 120
		.amdhsa_user_sgpr_count 15
		.amdhsa_user_sgpr_dispatch_ptr 0
		.amdhsa_user_sgpr_queue_ptr 0
		.amdhsa_user_sgpr_kernarg_segment_ptr 1
		.amdhsa_user_sgpr_dispatch_id 0
		.amdhsa_user_sgpr_private_segment_size 0
		.amdhsa_wavefront_size32 1
		.amdhsa_uses_dynamic_stack 0
		.amdhsa_enable_private_segment 0
		.amdhsa_system_sgpr_workgroup_id_x 1
		.amdhsa_system_sgpr_workgroup_id_y 0
		.amdhsa_system_sgpr_workgroup_id_z 0
		.amdhsa_system_sgpr_workgroup_info 0
		.amdhsa_system_vgpr_workitem_id 0
		.amdhsa_next_free_vgpr 1
		.amdhsa_next_free_sgpr 1
		.amdhsa_reserve_vcc 0
		.amdhsa_float_round_mode_32 0
		.amdhsa_float_round_mode_16_64 0
		.amdhsa_float_denorm_mode_32 3
		.amdhsa_float_denorm_mode_16_64 3
		.amdhsa_dx10_clamp 1
		.amdhsa_ieee_mode 1
		.amdhsa_fp16_overflow 0
		.amdhsa_workgroup_processor_mode 1
		.amdhsa_memory_ordered 1
		.amdhsa_forward_progress 0
		.amdhsa_shared_vgpr_count 0
		.amdhsa_exception_fp_ieee_invalid_op 0
		.amdhsa_exception_fp_denorm_src 0
		.amdhsa_exception_fp_ieee_div_zero 0
		.amdhsa_exception_fp_ieee_overflow 0
		.amdhsa_exception_fp_ieee_underflow 0
		.amdhsa_exception_fp_ieee_inexact 0
		.amdhsa_exception_int_div_zero 0
	.end_amdhsa_kernel
	.section	.text._ZN7rocprim17ROCPRIM_400000_NS6detail17trampoline_kernelINS0_14default_configENS1_27scan_by_key_config_selectorImiEEZZNS1_16scan_by_key_implILNS1_25lookback_scan_determinismE0ELb0ES3_N6thrust23THRUST_200600_302600_NS18transform_iteratorI9row_indexNS9_17counting_iteratorImNS9_11use_defaultESD_SD_EESD_SD_EENS9_6detail15normal_iteratorINS9_10device_ptrIiEEEESK_iNS9_4plusIvEENS9_8equal_toIvEEiEE10hipError_tPvRmT2_T3_T4_T5_mT6_T7_P12ihipStream_tbENKUlT_T0_E_clISt17integral_constantIbLb0EES15_EEDaS10_S11_EUlS10_E_NS1_11comp_targetILNS1_3genE0ELNS1_11target_archE4294967295ELNS1_3gpuE0ELNS1_3repE0EEENS1_30default_config_static_selectorELNS0_4arch9wavefront6targetE0EEEvT1_,"axG",@progbits,_ZN7rocprim17ROCPRIM_400000_NS6detail17trampoline_kernelINS0_14default_configENS1_27scan_by_key_config_selectorImiEEZZNS1_16scan_by_key_implILNS1_25lookback_scan_determinismE0ELb0ES3_N6thrust23THRUST_200600_302600_NS18transform_iteratorI9row_indexNS9_17counting_iteratorImNS9_11use_defaultESD_SD_EESD_SD_EENS9_6detail15normal_iteratorINS9_10device_ptrIiEEEESK_iNS9_4plusIvEENS9_8equal_toIvEEiEE10hipError_tPvRmT2_T3_T4_T5_mT6_T7_P12ihipStream_tbENKUlT_T0_E_clISt17integral_constantIbLb0EES15_EEDaS10_S11_EUlS10_E_NS1_11comp_targetILNS1_3genE0ELNS1_11target_archE4294967295ELNS1_3gpuE0ELNS1_3repE0EEENS1_30default_config_static_selectorELNS0_4arch9wavefront6targetE0EEEvT1_,comdat
.Lfunc_end3:
	.size	_ZN7rocprim17ROCPRIM_400000_NS6detail17trampoline_kernelINS0_14default_configENS1_27scan_by_key_config_selectorImiEEZZNS1_16scan_by_key_implILNS1_25lookback_scan_determinismE0ELb0ES3_N6thrust23THRUST_200600_302600_NS18transform_iteratorI9row_indexNS9_17counting_iteratorImNS9_11use_defaultESD_SD_EESD_SD_EENS9_6detail15normal_iteratorINS9_10device_ptrIiEEEESK_iNS9_4plusIvEENS9_8equal_toIvEEiEE10hipError_tPvRmT2_T3_T4_T5_mT6_T7_P12ihipStream_tbENKUlT_T0_E_clISt17integral_constantIbLb0EES15_EEDaS10_S11_EUlS10_E_NS1_11comp_targetILNS1_3genE0ELNS1_11target_archE4294967295ELNS1_3gpuE0ELNS1_3repE0EEENS1_30default_config_static_selectorELNS0_4arch9wavefront6targetE0EEEvT1_, .Lfunc_end3-_ZN7rocprim17ROCPRIM_400000_NS6detail17trampoline_kernelINS0_14default_configENS1_27scan_by_key_config_selectorImiEEZZNS1_16scan_by_key_implILNS1_25lookback_scan_determinismE0ELb0ES3_N6thrust23THRUST_200600_302600_NS18transform_iteratorI9row_indexNS9_17counting_iteratorImNS9_11use_defaultESD_SD_EESD_SD_EENS9_6detail15normal_iteratorINS9_10device_ptrIiEEEESK_iNS9_4plusIvEENS9_8equal_toIvEEiEE10hipError_tPvRmT2_T3_T4_T5_mT6_T7_P12ihipStream_tbENKUlT_T0_E_clISt17integral_constantIbLb0EES15_EEDaS10_S11_EUlS10_E_NS1_11comp_targetILNS1_3genE0ELNS1_11target_archE4294967295ELNS1_3gpuE0ELNS1_3repE0EEENS1_30default_config_static_selectorELNS0_4arch9wavefront6targetE0EEEvT1_
                                        ; -- End function
	.section	.AMDGPU.csdata,"",@progbits
; Kernel info:
; codeLenInByte = 0
; NumSgprs: 0
; NumVgprs: 0
; ScratchSize: 0
; MemoryBound: 0
; FloatMode: 240
; IeeeMode: 1
; LDSByteSize: 0 bytes/workgroup (compile time only)
; SGPRBlocks: 0
; VGPRBlocks: 0
; NumSGPRsForWavesPerEU: 1
; NumVGPRsForWavesPerEU: 1
; Occupancy: 16
; WaveLimiterHint : 0
; COMPUTE_PGM_RSRC2:SCRATCH_EN: 0
; COMPUTE_PGM_RSRC2:USER_SGPR: 15
; COMPUTE_PGM_RSRC2:TRAP_HANDLER: 0
; COMPUTE_PGM_RSRC2:TGID_X_EN: 1
; COMPUTE_PGM_RSRC2:TGID_Y_EN: 0
; COMPUTE_PGM_RSRC2:TGID_Z_EN: 0
; COMPUTE_PGM_RSRC2:TIDIG_COMP_CNT: 0
	.section	.text._ZN7rocprim17ROCPRIM_400000_NS6detail17trampoline_kernelINS0_14default_configENS1_27scan_by_key_config_selectorImiEEZZNS1_16scan_by_key_implILNS1_25lookback_scan_determinismE0ELb0ES3_N6thrust23THRUST_200600_302600_NS18transform_iteratorI9row_indexNS9_17counting_iteratorImNS9_11use_defaultESD_SD_EESD_SD_EENS9_6detail15normal_iteratorINS9_10device_ptrIiEEEESK_iNS9_4plusIvEENS9_8equal_toIvEEiEE10hipError_tPvRmT2_T3_T4_T5_mT6_T7_P12ihipStream_tbENKUlT_T0_E_clISt17integral_constantIbLb0EES15_EEDaS10_S11_EUlS10_E_NS1_11comp_targetILNS1_3genE10ELNS1_11target_archE1201ELNS1_3gpuE5ELNS1_3repE0EEENS1_30default_config_static_selectorELNS0_4arch9wavefront6targetE0EEEvT1_,"axG",@progbits,_ZN7rocprim17ROCPRIM_400000_NS6detail17trampoline_kernelINS0_14default_configENS1_27scan_by_key_config_selectorImiEEZZNS1_16scan_by_key_implILNS1_25lookback_scan_determinismE0ELb0ES3_N6thrust23THRUST_200600_302600_NS18transform_iteratorI9row_indexNS9_17counting_iteratorImNS9_11use_defaultESD_SD_EESD_SD_EENS9_6detail15normal_iteratorINS9_10device_ptrIiEEEESK_iNS9_4plusIvEENS9_8equal_toIvEEiEE10hipError_tPvRmT2_T3_T4_T5_mT6_T7_P12ihipStream_tbENKUlT_T0_E_clISt17integral_constantIbLb0EES15_EEDaS10_S11_EUlS10_E_NS1_11comp_targetILNS1_3genE10ELNS1_11target_archE1201ELNS1_3gpuE5ELNS1_3repE0EEENS1_30default_config_static_selectorELNS0_4arch9wavefront6targetE0EEEvT1_,comdat
	.protected	_ZN7rocprim17ROCPRIM_400000_NS6detail17trampoline_kernelINS0_14default_configENS1_27scan_by_key_config_selectorImiEEZZNS1_16scan_by_key_implILNS1_25lookback_scan_determinismE0ELb0ES3_N6thrust23THRUST_200600_302600_NS18transform_iteratorI9row_indexNS9_17counting_iteratorImNS9_11use_defaultESD_SD_EESD_SD_EENS9_6detail15normal_iteratorINS9_10device_ptrIiEEEESK_iNS9_4plusIvEENS9_8equal_toIvEEiEE10hipError_tPvRmT2_T3_T4_T5_mT6_T7_P12ihipStream_tbENKUlT_T0_E_clISt17integral_constantIbLb0EES15_EEDaS10_S11_EUlS10_E_NS1_11comp_targetILNS1_3genE10ELNS1_11target_archE1201ELNS1_3gpuE5ELNS1_3repE0EEENS1_30default_config_static_selectorELNS0_4arch9wavefront6targetE0EEEvT1_ ; -- Begin function _ZN7rocprim17ROCPRIM_400000_NS6detail17trampoline_kernelINS0_14default_configENS1_27scan_by_key_config_selectorImiEEZZNS1_16scan_by_key_implILNS1_25lookback_scan_determinismE0ELb0ES3_N6thrust23THRUST_200600_302600_NS18transform_iteratorI9row_indexNS9_17counting_iteratorImNS9_11use_defaultESD_SD_EESD_SD_EENS9_6detail15normal_iteratorINS9_10device_ptrIiEEEESK_iNS9_4plusIvEENS9_8equal_toIvEEiEE10hipError_tPvRmT2_T3_T4_T5_mT6_T7_P12ihipStream_tbENKUlT_T0_E_clISt17integral_constantIbLb0EES15_EEDaS10_S11_EUlS10_E_NS1_11comp_targetILNS1_3genE10ELNS1_11target_archE1201ELNS1_3gpuE5ELNS1_3repE0EEENS1_30default_config_static_selectorELNS0_4arch9wavefront6targetE0EEEvT1_
	.globl	_ZN7rocprim17ROCPRIM_400000_NS6detail17trampoline_kernelINS0_14default_configENS1_27scan_by_key_config_selectorImiEEZZNS1_16scan_by_key_implILNS1_25lookback_scan_determinismE0ELb0ES3_N6thrust23THRUST_200600_302600_NS18transform_iteratorI9row_indexNS9_17counting_iteratorImNS9_11use_defaultESD_SD_EESD_SD_EENS9_6detail15normal_iteratorINS9_10device_ptrIiEEEESK_iNS9_4plusIvEENS9_8equal_toIvEEiEE10hipError_tPvRmT2_T3_T4_T5_mT6_T7_P12ihipStream_tbENKUlT_T0_E_clISt17integral_constantIbLb0EES15_EEDaS10_S11_EUlS10_E_NS1_11comp_targetILNS1_3genE10ELNS1_11target_archE1201ELNS1_3gpuE5ELNS1_3repE0EEENS1_30default_config_static_selectorELNS0_4arch9wavefront6targetE0EEEvT1_
	.p2align	8
	.type	_ZN7rocprim17ROCPRIM_400000_NS6detail17trampoline_kernelINS0_14default_configENS1_27scan_by_key_config_selectorImiEEZZNS1_16scan_by_key_implILNS1_25lookback_scan_determinismE0ELb0ES3_N6thrust23THRUST_200600_302600_NS18transform_iteratorI9row_indexNS9_17counting_iteratorImNS9_11use_defaultESD_SD_EESD_SD_EENS9_6detail15normal_iteratorINS9_10device_ptrIiEEEESK_iNS9_4plusIvEENS9_8equal_toIvEEiEE10hipError_tPvRmT2_T3_T4_T5_mT6_T7_P12ihipStream_tbENKUlT_T0_E_clISt17integral_constantIbLb0EES15_EEDaS10_S11_EUlS10_E_NS1_11comp_targetILNS1_3genE10ELNS1_11target_archE1201ELNS1_3gpuE5ELNS1_3repE0EEENS1_30default_config_static_selectorELNS0_4arch9wavefront6targetE0EEEvT1_,@function
_ZN7rocprim17ROCPRIM_400000_NS6detail17trampoline_kernelINS0_14default_configENS1_27scan_by_key_config_selectorImiEEZZNS1_16scan_by_key_implILNS1_25lookback_scan_determinismE0ELb0ES3_N6thrust23THRUST_200600_302600_NS18transform_iteratorI9row_indexNS9_17counting_iteratorImNS9_11use_defaultESD_SD_EESD_SD_EENS9_6detail15normal_iteratorINS9_10device_ptrIiEEEESK_iNS9_4plusIvEENS9_8equal_toIvEEiEE10hipError_tPvRmT2_T3_T4_T5_mT6_T7_P12ihipStream_tbENKUlT_T0_E_clISt17integral_constantIbLb0EES15_EEDaS10_S11_EUlS10_E_NS1_11comp_targetILNS1_3genE10ELNS1_11target_archE1201ELNS1_3gpuE5ELNS1_3repE0EEENS1_30default_config_static_selectorELNS0_4arch9wavefront6targetE0EEEvT1_: ; @_ZN7rocprim17ROCPRIM_400000_NS6detail17trampoline_kernelINS0_14default_configENS1_27scan_by_key_config_selectorImiEEZZNS1_16scan_by_key_implILNS1_25lookback_scan_determinismE0ELb0ES3_N6thrust23THRUST_200600_302600_NS18transform_iteratorI9row_indexNS9_17counting_iteratorImNS9_11use_defaultESD_SD_EESD_SD_EENS9_6detail15normal_iteratorINS9_10device_ptrIiEEEESK_iNS9_4plusIvEENS9_8equal_toIvEEiEE10hipError_tPvRmT2_T3_T4_T5_mT6_T7_P12ihipStream_tbENKUlT_T0_E_clISt17integral_constantIbLb0EES15_EEDaS10_S11_EUlS10_E_NS1_11comp_targetILNS1_3genE10ELNS1_11target_archE1201ELNS1_3gpuE5ELNS1_3repE0EEENS1_30default_config_static_selectorELNS0_4arch9wavefront6targetE0EEEvT1_
; %bb.0:
	.section	.rodata,"a",@progbits
	.p2align	6, 0x0
	.amdhsa_kernel _ZN7rocprim17ROCPRIM_400000_NS6detail17trampoline_kernelINS0_14default_configENS1_27scan_by_key_config_selectorImiEEZZNS1_16scan_by_key_implILNS1_25lookback_scan_determinismE0ELb0ES3_N6thrust23THRUST_200600_302600_NS18transform_iteratorI9row_indexNS9_17counting_iteratorImNS9_11use_defaultESD_SD_EESD_SD_EENS9_6detail15normal_iteratorINS9_10device_ptrIiEEEESK_iNS9_4plusIvEENS9_8equal_toIvEEiEE10hipError_tPvRmT2_T3_T4_T5_mT6_T7_P12ihipStream_tbENKUlT_T0_E_clISt17integral_constantIbLb0EES15_EEDaS10_S11_EUlS10_E_NS1_11comp_targetILNS1_3genE10ELNS1_11target_archE1201ELNS1_3gpuE5ELNS1_3repE0EEENS1_30default_config_static_selectorELNS0_4arch9wavefront6targetE0EEEvT1_
		.amdhsa_group_segment_fixed_size 0
		.amdhsa_private_segment_fixed_size 0
		.amdhsa_kernarg_size 120
		.amdhsa_user_sgpr_count 15
		.amdhsa_user_sgpr_dispatch_ptr 0
		.amdhsa_user_sgpr_queue_ptr 0
		.amdhsa_user_sgpr_kernarg_segment_ptr 1
		.amdhsa_user_sgpr_dispatch_id 0
		.amdhsa_user_sgpr_private_segment_size 0
		.amdhsa_wavefront_size32 1
		.amdhsa_uses_dynamic_stack 0
		.amdhsa_enable_private_segment 0
		.amdhsa_system_sgpr_workgroup_id_x 1
		.amdhsa_system_sgpr_workgroup_id_y 0
		.amdhsa_system_sgpr_workgroup_id_z 0
		.amdhsa_system_sgpr_workgroup_info 0
		.amdhsa_system_vgpr_workitem_id 0
		.amdhsa_next_free_vgpr 1
		.amdhsa_next_free_sgpr 1
		.amdhsa_reserve_vcc 0
		.amdhsa_float_round_mode_32 0
		.amdhsa_float_round_mode_16_64 0
		.amdhsa_float_denorm_mode_32 3
		.amdhsa_float_denorm_mode_16_64 3
		.amdhsa_dx10_clamp 1
		.amdhsa_ieee_mode 1
		.amdhsa_fp16_overflow 0
		.amdhsa_workgroup_processor_mode 1
		.amdhsa_memory_ordered 1
		.amdhsa_forward_progress 0
		.amdhsa_shared_vgpr_count 0
		.amdhsa_exception_fp_ieee_invalid_op 0
		.amdhsa_exception_fp_denorm_src 0
		.amdhsa_exception_fp_ieee_div_zero 0
		.amdhsa_exception_fp_ieee_overflow 0
		.amdhsa_exception_fp_ieee_underflow 0
		.amdhsa_exception_fp_ieee_inexact 0
		.amdhsa_exception_int_div_zero 0
	.end_amdhsa_kernel
	.section	.text._ZN7rocprim17ROCPRIM_400000_NS6detail17trampoline_kernelINS0_14default_configENS1_27scan_by_key_config_selectorImiEEZZNS1_16scan_by_key_implILNS1_25lookback_scan_determinismE0ELb0ES3_N6thrust23THRUST_200600_302600_NS18transform_iteratorI9row_indexNS9_17counting_iteratorImNS9_11use_defaultESD_SD_EESD_SD_EENS9_6detail15normal_iteratorINS9_10device_ptrIiEEEESK_iNS9_4plusIvEENS9_8equal_toIvEEiEE10hipError_tPvRmT2_T3_T4_T5_mT6_T7_P12ihipStream_tbENKUlT_T0_E_clISt17integral_constantIbLb0EES15_EEDaS10_S11_EUlS10_E_NS1_11comp_targetILNS1_3genE10ELNS1_11target_archE1201ELNS1_3gpuE5ELNS1_3repE0EEENS1_30default_config_static_selectorELNS0_4arch9wavefront6targetE0EEEvT1_,"axG",@progbits,_ZN7rocprim17ROCPRIM_400000_NS6detail17trampoline_kernelINS0_14default_configENS1_27scan_by_key_config_selectorImiEEZZNS1_16scan_by_key_implILNS1_25lookback_scan_determinismE0ELb0ES3_N6thrust23THRUST_200600_302600_NS18transform_iteratorI9row_indexNS9_17counting_iteratorImNS9_11use_defaultESD_SD_EESD_SD_EENS9_6detail15normal_iteratorINS9_10device_ptrIiEEEESK_iNS9_4plusIvEENS9_8equal_toIvEEiEE10hipError_tPvRmT2_T3_T4_T5_mT6_T7_P12ihipStream_tbENKUlT_T0_E_clISt17integral_constantIbLb0EES15_EEDaS10_S11_EUlS10_E_NS1_11comp_targetILNS1_3genE10ELNS1_11target_archE1201ELNS1_3gpuE5ELNS1_3repE0EEENS1_30default_config_static_selectorELNS0_4arch9wavefront6targetE0EEEvT1_,comdat
.Lfunc_end4:
	.size	_ZN7rocprim17ROCPRIM_400000_NS6detail17trampoline_kernelINS0_14default_configENS1_27scan_by_key_config_selectorImiEEZZNS1_16scan_by_key_implILNS1_25lookback_scan_determinismE0ELb0ES3_N6thrust23THRUST_200600_302600_NS18transform_iteratorI9row_indexNS9_17counting_iteratorImNS9_11use_defaultESD_SD_EESD_SD_EENS9_6detail15normal_iteratorINS9_10device_ptrIiEEEESK_iNS9_4plusIvEENS9_8equal_toIvEEiEE10hipError_tPvRmT2_T3_T4_T5_mT6_T7_P12ihipStream_tbENKUlT_T0_E_clISt17integral_constantIbLb0EES15_EEDaS10_S11_EUlS10_E_NS1_11comp_targetILNS1_3genE10ELNS1_11target_archE1201ELNS1_3gpuE5ELNS1_3repE0EEENS1_30default_config_static_selectorELNS0_4arch9wavefront6targetE0EEEvT1_, .Lfunc_end4-_ZN7rocprim17ROCPRIM_400000_NS6detail17trampoline_kernelINS0_14default_configENS1_27scan_by_key_config_selectorImiEEZZNS1_16scan_by_key_implILNS1_25lookback_scan_determinismE0ELb0ES3_N6thrust23THRUST_200600_302600_NS18transform_iteratorI9row_indexNS9_17counting_iteratorImNS9_11use_defaultESD_SD_EESD_SD_EENS9_6detail15normal_iteratorINS9_10device_ptrIiEEEESK_iNS9_4plusIvEENS9_8equal_toIvEEiEE10hipError_tPvRmT2_T3_T4_T5_mT6_T7_P12ihipStream_tbENKUlT_T0_E_clISt17integral_constantIbLb0EES15_EEDaS10_S11_EUlS10_E_NS1_11comp_targetILNS1_3genE10ELNS1_11target_archE1201ELNS1_3gpuE5ELNS1_3repE0EEENS1_30default_config_static_selectorELNS0_4arch9wavefront6targetE0EEEvT1_
                                        ; -- End function
	.section	.AMDGPU.csdata,"",@progbits
; Kernel info:
; codeLenInByte = 0
; NumSgprs: 0
; NumVgprs: 0
; ScratchSize: 0
; MemoryBound: 0
; FloatMode: 240
; IeeeMode: 1
; LDSByteSize: 0 bytes/workgroup (compile time only)
; SGPRBlocks: 0
; VGPRBlocks: 0
; NumSGPRsForWavesPerEU: 1
; NumVGPRsForWavesPerEU: 1
; Occupancy: 16
; WaveLimiterHint : 0
; COMPUTE_PGM_RSRC2:SCRATCH_EN: 0
; COMPUTE_PGM_RSRC2:USER_SGPR: 15
; COMPUTE_PGM_RSRC2:TRAP_HANDLER: 0
; COMPUTE_PGM_RSRC2:TGID_X_EN: 1
; COMPUTE_PGM_RSRC2:TGID_Y_EN: 0
; COMPUTE_PGM_RSRC2:TGID_Z_EN: 0
; COMPUTE_PGM_RSRC2:TIDIG_COMP_CNT: 0
	.section	.text._ZN7rocprim17ROCPRIM_400000_NS6detail17trampoline_kernelINS0_14default_configENS1_27scan_by_key_config_selectorImiEEZZNS1_16scan_by_key_implILNS1_25lookback_scan_determinismE0ELb0ES3_N6thrust23THRUST_200600_302600_NS18transform_iteratorI9row_indexNS9_17counting_iteratorImNS9_11use_defaultESD_SD_EESD_SD_EENS9_6detail15normal_iteratorINS9_10device_ptrIiEEEESK_iNS9_4plusIvEENS9_8equal_toIvEEiEE10hipError_tPvRmT2_T3_T4_T5_mT6_T7_P12ihipStream_tbENKUlT_T0_E_clISt17integral_constantIbLb0EES15_EEDaS10_S11_EUlS10_E_NS1_11comp_targetILNS1_3genE5ELNS1_11target_archE942ELNS1_3gpuE9ELNS1_3repE0EEENS1_30default_config_static_selectorELNS0_4arch9wavefront6targetE0EEEvT1_,"axG",@progbits,_ZN7rocprim17ROCPRIM_400000_NS6detail17trampoline_kernelINS0_14default_configENS1_27scan_by_key_config_selectorImiEEZZNS1_16scan_by_key_implILNS1_25lookback_scan_determinismE0ELb0ES3_N6thrust23THRUST_200600_302600_NS18transform_iteratorI9row_indexNS9_17counting_iteratorImNS9_11use_defaultESD_SD_EESD_SD_EENS9_6detail15normal_iteratorINS9_10device_ptrIiEEEESK_iNS9_4plusIvEENS9_8equal_toIvEEiEE10hipError_tPvRmT2_T3_T4_T5_mT6_T7_P12ihipStream_tbENKUlT_T0_E_clISt17integral_constantIbLb0EES15_EEDaS10_S11_EUlS10_E_NS1_11comp_targetILNS1_3genE5ELNS1_11target_archE942ELNS1_3gpuE9ELNS1_3repE0EEENS1_30default_config_static_selectorELNS0_4arch9wavefront6targetE0EEEvT1_,comdat
	.protected	_ZN7rocprim17ROCPRIM_400000_NS6detail17trampoline_kernelINS0_14default_configENS1_27scan_by_key_config_selectorImiEEZZNS1_16scan_by_key_implILNS1_25lookback_scan_determinismE0ELb0ES3_N6thrust23THRUST_200600_302600_NS18transform_iteratorI9row_indexNS9_17counting_iteratorImNS9_11use_defaultESD_SD_EESD_SD_EENS9_6detail15normal_iteratorINS9_10device_ptrIiEEEESK_iNS9_4plusIvEENS9_8equal_toIvEEiEE10hipError_tPvRmT2_T3_T4_T5_mT6_T7_P12ihipStream_tbENKUlT_T0_E_clISt17integral_constantIbLb0EES15_EEDaS10_S11_EUlS10_E_NS1_11comp_targetILNS1_3genE5ELNS1_11target_archE942ELNS1_3gpuE9ELNS1_3repE0EEENS1_30default_config_static_selectorELNS0_4arch9wavefront6targetE0EEEvT1_ ; -- Begin function _ZN7rocprim17ROCPRIM_400000_NS6detail17trampoline_kernelINS0_14default_configENS1_27scan_by_key_config_selectorImiEEZZNS1_16scan_by_key_implILNS1_25lookback_scan_determinismE0ELb0ES3_N6thrust23THRUST_200600_302600_NS18transform_iteratorI9row_indexNS9_17counting_iteratorImNS9_11use_defaultESD_SD_EESD_SD_EENS9_6detail15normal_iteratorINS9_10device_ptrIiEEEESK_iNS9_4plusIvEENS9_8equal_toIvEEiEE10hipError_tPvRmT2_T3_T4_T5_mT6_T7_P12ihipStream_tbENKUlT_T0_E_clISt17integral_constantIbLb0EES15_EEDaS10_S11_EUlS10_E_NS1_11comp_targetILNS1_3genE5ELNS1_11target_archE942ELNS1_3gpuE9ELNS1_3repE0EEENS1_30default_config_static_selectorELNS0_4arch9wavefront6targetE0EEEvT1_
	.globl	_ZN7rocprim17ROCPRIM_400000_NS6detail17trampoline_kernelINS0_14default_configENS1_27scan_by_key_config_selectorImiEEZZNS1_16scan_by_key_implILNS1_25lookback_scan_determinismE0ELb0ES3_N6thrust23THRUST_200600_302600_NS18transform_iteratorI9row_indexNS9_17counting_iteratorImNS9_11use_defaultESD_SD_EESD_SD_EENS9_6detail15normal_iteratorINS9_10device_ptrIiEEEESK_iNS9_4plusIvEENS9_8equal_toIvEEiEE10hipError_tPvRmT2_T3_T4_T5_mT6_T7_P12ihipStream_tbENKUlT_T0_E_clISt17integral_constantIbLb0EES15_EEDaS10_S11_EUlS10_E_NS1_11comp_targetILNS1_3genE5ELNS1_11target_archE942ELNS1_3gpuE9ELNS1_3repE0EEENS1_30default_config_static_selectorELNS0_4arch9wavefront6targetE0EEEvT1_
	.p2align	8
	.type	_ZN7rocprim17ROCPRIM_400000_NS6detail17trampoline_kernelINS0_14default_configENS1_27scan_by_key_config_selectorImiEEZZNS1_16scan_by_key_implILNS1_25lookback_scan_determinismE0ELb0ES3_N6thrust23THRUST_200600_302600_NS18transform_iteratorI9row_indexNS9_17counting_iteratorImNS9_11use_defaultESD_SD_EESD_SD_EENS9_6detail15normal_iteratorINS9_10device_ptrIiEEEESK_iNS9_4plusIvEENS9_8equal_toIvEEiEE10hipError_tPvRmT2_T3_T4_T5_mT6_T7_P12ihipStream_tbENKUlT_T0_E_clISt17integral_constantIbLb0EES15_EEDaS10_S11_EUlS10_E_NS1_11comp_targetILNS1_3genE5ELNS1_11target_archE942ELNS1_3gpuE9ELNS1_3repE0EEENS1_30default_config_static_selectorELNS0_4arch9wavefront6targetE0EEEvT1_,@function
_ZN7rocprim17ROCPRIM_400000_NS6detail17trampoline_kernelINS0_14default_configENS1_27scan_by_key_config_selectorImiEEZZNS1_16scan_by_key_implILNS1_25lookback_scan_determinismE0ELb0ES3_N6thrust23THRUST_200600_302600_NS18transform_iteratorI9row_indexNS9_17counting_iteratorImNS9_11use_defaultESD_SD_EESD_SD_EENS9_6detail15normal_iteratorINS9_10device_ptrIiEEEESK_iNS9_4plusIvEENS9_8equal_toIvEEiEE10hipError_tPvRmT2_T3_T4_T5_mT6_T7_P12ihipStream_tbENKUlT_T0_E_clISt17integral_constantIbLb0EES15_EEDaS10_S11_EUlS10_E_NS1_11comp_targetILNS1_3genE5ELNS1_11target_archE942ELNS1_3gpuE9ELNS1_3repE0EEENS1_30default_config_static_selectorELNS0_4arch9wavefront6targetE0EEEvT1_: ; @_ZN7rocprim17ROCPRIM_400000_NS6detail17trampoline_kernelINS0_14default_configENS1_27scan_by_key_config_selectorImiEEZZNS1_16scan_by_key_implILNS1_25lookback_scan_determinismE0ELb0ES3_N6thrust23THRUST_200600_302600_NS18transform_iteratorI9row_indexNS9_17counting_iteratorImNS9_11use_defaultESD_SD_EESD_SD_EENS9_6detail15normal_iteratorINS9_10device_ptrIiEEEESK_iNS9_4plusIvEENS9_8equal_toIvEEiEE10hipError_tPvRmT2_T3_T4_T5_mT6_T7_P12ihipStream_tbENKUlT_T0_E_clISt17integral_constantIbLb0EES15_EEDaS10_S11_EUlS10_E_NS1_11comp_targetILNS1_3genE5ELNS1_11target_archE942ELNS1_3gpuE9ELNS1_3repE0EEENS1_30default_config_static_selectorELNS0_4arch9wavefront6targetE0EEEvT1_
; %bb.0:
	.section	.rodata,"a",@progbits
	.p2align	6, 0x0
	.amdhsa_kernel _ZN7rocprim17ROCPRIM_400000_NS6detail17trampoline_kernelINS0_14default_configENS1_27scan_by_key_config_selectorImiEEZZNS1_16scan_by_key_implILNS1_25lookback_scan_determinismE0ELb0ES3_N6thrust23THRUST_200600_302600_NS18transform_iteratorI9row_indexNS9_17counting_iteratorImNS9_11use_defaultESD_SD_EESD_SD_EENS9_6detail15normal_iteratorINS9_10device_ptrIiEEEESK_iNS9_4plusIvEENS9_8equal_toIvEEiEE10hipError_tPvRmT2_T3_T4_T5_mT6_T7_P12ihipStream_tbENKUlT_T0_E_clISt17integral_constantIbLb0EES15_EEDaS10_S11_EUlS10_E_NS1_11comp_targetILNS1_3genE5ELNS1_11target_archE942ELNS1_3gpuE9ELNS1_3repE0EEENS1_30default_config_static_selectorELNS0_4arch9wavefront6targetE0EEEvT1_
		.amdhsa_group_segment_fixed_size 0
		.amdhsa_private_segment_fixed_size 0
		.amdhsa_kernarg_size 120
		.amdhsa_user_sgpr_count 15
		.amdhsa_user_sgpr_dispatch_ptr 0
		.amdhsa_user_sgpr_queue_ptr 0
		.amdhsa_user_sgpr_kernarg_segment_ptr 1
		.amdhsa_user_sgpr_dispatch_id 0
		.amdhsa_user_sgpr_private_segment_size 0
		.amdhsa_wavefront_size32 1
		.amdhsa_uses_dynamic_stack 0
		.amdhsa_enable_private_segment 0
		.amdhsa_system_sgpr_workgroup_id_x 1
		.amdhsa_system_sgpr_workgroup_id_y 0
		.amdhsa_system_sgpr_workgroup_id_z 0
		.amdhsa_system_sgpr_workgroup_info 0
		.amdhsa_system_vgpr_workitem_id 0
		.amdhsa_next_free_vgpr 1
		.amdhsa_next_free_sgpr 1
		.amdhsa_reserve_vcc 0
		.amdhsa_float_round_mode_32 0
		.amdhsa_float_round_mode_16_64 0
		.amdhsa_float_denorm_mode_32 3
		.amdhsa_float_denorm_mode_16_64 3
		.amdhsa_dx10_clamp 1
		.amdhsa_ieee_mode 1
		.amdhsa_fp16_overflow 0
		.amdhsa_workgroup_processor_mode 1
		.amdhsa_memory_ordered 1
		.amdhsa_forward_progress 0
		.amdhsa_shared_vgpr_count 0
		.amdhsa_exception_fp_ieee_invalid_op 0
		.amdhsa_exception_fp_denorm_src 0
		.amdhsa_exception_fp_ieee_div_zero 0
		.amdhsa_exception_fp_ieee_overflow 0
		.amdhsa_exception_fp_ieee_underflow 0
		.amdhsa_exception_fp_ieee_inexact 0
		.amdhsa_exception_int_div_zero 0
	.end_amdhsa_kernel
	.section	.text._ZN7rocprim17ROCPRIM_400000_NS6detail17trampoline_kernelINS0_14default_configENS1_27scan_by_key_config_selectorImiEEZZNS1_16scan_by_key_implILNS1_25lookback_scan_determinismE0ELb0ES3_N6thrust23THRUST_200600_302600_NS18transform_iteratorI9row_indexNS9_17counting_iteratorImNS9_11use_defaultESD_SD_EESD_SD_EENS9_6detail15normal_iteratorINS9_10device_ptrIiEEEESK_iNS9_4plusIvEENS9_8equal_toIvEEiEE10hipError_tPvRmT2_T3_T4_T5_mT6_T7_P12ihipStream_tbENKUlT_T0_E_clISt17integral_constantIbLb0EES15_EEDaS10_S11_EUlS10_E_NS1_11comp_targetILNS1_3genE5ELNS1_11target_archE942ELNS1_3gpuE9ELNS1_3repE0EEENS1_30default_config_static_selectorELNS0_4arch9wavefront6targetE0EEEvT1_,"axG",@progbits,_ZN7rocprim17ROCPRIM_400000_NS6detail17trampoline_kernelINS0_14default_configENS1_27scan_by_key_config_selectorImiEEZZNS1_16scan_by_key_implILNS1_25lookback_scan_determinismE0ELb0ES3_N6thrust23THRUST_200600_302600_NS18transform_iteratorI9row_indexNS9_17counting_iteratorImNS9_11use_defaultESD_SD_EESD_SD_EENS9_6detail15normal_iteratorINS9_10device_ptrIiEEEESK_iNS9_4plusIvEENS9_8equal_toIvEEiEE10hipError_tPvRmT2_T3_T4_T5_mT6_T7_P12ihipStream_tbENKUlT_T0_E_clISt17integral_constantIbLb0EES15_EEDaS10_S11_EUlS10_E_NS1_11comp_targetILNS1_3genE5ELNS1_11target_archE942ELNS1_3gpuE9ELNS1_3repE0EEENS1_30default_config_static_selectorELNS0_4arch9wavefront6targetE0EEEvT1_,comdat
.Lfunc_end5:
	.size	_ZN7rocprim17ROCPRIM_400000_NS6detail17trampoline_kernelINS0_14default_configENS1_27scan_by_key_config_selectorImiEEZZNS1_16scan_by_key_implILNS1_25lookback_scan_determinismE0ELb0ES3_N6thrust23THRUST_200600_302600_NS18transform_iteratorI9row_indexNS9_17counting_iteratorImNS9_11use_defaultESD_SD_EESD_SD_EENS9_6detail15normal_iteratorINS9_10device_ptrIiEEEESK_iNS9_4plusIvEENS9_8equal_toIvEEiEE10hipError_tPvRmT2_T3_T4_T5_mT6_T7_P12ihipStream_tbENKUlT_T0_E_clISt17integral_constantIbLb0EES15_EEDaS10_S11_EUlS10_E_NS1_11comp_targetILNS1_3genE5ELNS1_11target_archE942ELNS1_3gpuE9ELNS1_3repE0EEENS1_30default_config_static_selectorELNS0_4arch9wavefront6targetE0EEEvT1_, .Lfunc_end5-_ZN7rocprim17ROCPRIM_400000_NS6detail17trampoline_kernelINS0_14default_configENS1_27scan_by_key_config_selectorImiEEZZNS1_16scan_by_key_implILNS1_25lookback_scan_determinismE0ELb0ES3_N6thrust23THRUST_200600_302600_NS18transform_iteratorI9row_indexNS9_17counting_iteratorImNS9_11use_defaultESD_SD_EESD_SD_EENS9_6detail15normal_iteratorINS9_10device_ptrIiEEEESK_iNS9_4plusIvEENS9_8equal_toIvEEiEE10hipError_tPvRmT2_T3_T4_T5_mT6_T7_P12ihipStream_tbENKUlT_T0_E_clISt17integral_constantIbLb0EES15_EEDaS10_S11_EUlS10_E_NS1_11comp_targetILNS1_3genE5ELNS1_11target_archE942ELNS1_3gpuE9ELNS1_3repE0EEENS1_30default_config_static_selectorELNS0_4arch9wavefront6targetE0EEEvT1_
                                        ; -- End function
	.section	.AMDGPU.csdata,"",@progbits
; Kernel info:
; codeLenInByte = 0
; NumSgprs: 0
; NumVgprs: 0
; ScratchSize: 0
; MemoryBound: 0
; FloatMode: 240
; IeeeMode: 1
; LDSByteSize: 0 bytes/workgroup (compile time only)
; SGPRBlocks: 0
; VGPRBlocks: 0
; NumSGPRsForWavesPerEU: 1
; NumVGPRsForWavesPerEU: 1
; Occupancy: 16
; WaveLimiterHint : 0
; COMPUTE_PGM_RSRC2:SCRATCH_EN: 0
; COMPUTE_PGM_RSRC2:USER_SGPR: 15
; COMPUTE_PGM_RSRC2:TRAP_HANDLER: 0
; COMPUTE_PGM_RSRC2:TGID_X_EN: 1
; COMPUTE_PGM_RSRC2:TGID_Y_EN: 0
; COMPUTE_PGM_RSRC2:TGID_Z_EN: 0
; COMPUTE_PGM_RSRC2:TIDIG_COMP_CNT: 0
	.section	.text._ZN7rocprim17ROCPRIM_400000_NS6detail17trampoline_kernelINS0_14default_configENS1_27scan_by_key_config_selectorImiEEZZNS1_16scan_by_key_implILNS1_25lookback_scan_determinismE0ELb0ES3_N6thrust23THRUST_200600_302600_NS18transform_iteratorI9row_indexNS9_17counting_iteratorImNS9_11use_defaultESD_SD_EESD_SD_EENS9_6detail15normal_iteratorINS9_10device_ptrIiEEEESK_iNS9_4plusIvEENS9_8equal_toIvEEiEE10hipError_tPvRmT2_T3_T4_T5_mT6_T7_P12ihipStream_tbENKUlT_T0_E_clISt17integral_constantIbLb0EES15_EEDaS10_S11_EUlS10_E_NS1_11comp_targetILNS1_3genE4ELNS1_11target_archE910ELNS1_3gpuE8ELNS1_3repE0EEENS1_30default_config_static_selectorELNS0_4arch9wavefront6targetE0EEEvT1_,"axG",@progbits,_ZN7rocprim17ROCPRIM_400000_NS6detail17trampoline_kernelINS0_14default_configENS1_27scan_by_key_config_selectorImiEEZZNS1_16scan_by_key_implILNS1_25lookback_scan_determinismE0ELb0ES3_N6thrust23THRUST_200600_302600_NS18transform_iteratorI9row_indexNS9_17counting_iteratorImNS9_11use_defaultESD_SD_EESD_SD_EENS9_6detail15normal_iteratorINS9_10device_ptrIiEEEESK_iNS9_4plusIvEENS9_8equal_toIvEEiEE10hipError_tPvRmT2_T3_T4_T5_mT6_T7_P12ihipStream_tbENKUlT_T0_E_clISt17integral_constantIbLb0EES15_EEDaS10_S11_EUlS10_E_NS1_11comp_targetILNS1_3genE4ELNS1_11target_archE910ELNS1_3gpuE8ELNS1_3repE0EEENS1_30default_config_static_selectorELNS0_4arch9wavefront6targetE0EEEvT1_,comdat
	.protected	_ZN7rocprim17ROCPRIM_400000_NS6detail17trampoline_kernelINS0_14default_configENS1_27scan_by_key_config_selectorImiEEZZNS1_16scan_by_key_implILNS1_25lookback_scan_determinismE0ELb0ES3_N6thrust23THRUST_200600_302600_NS18transform_iteratorI9row_indexNS9_17counting_iteratorImNS9_11use_defaultESD_SD_EESD_SD_EENS9_6detail15normal_iteratorINS9_10device_ptrIiEEEESK_iNS9_4plusIvEENS9_8equal_toIvEEiEE10hipError_tPvRmT2_T3_T4_T5_mT6_T7_P12ihipStream_tbENKUlT_T0_E_clISt17integral_constantIbLb0EES15_EEDaS10_S11_EUlS10_E_NS1_11comp_targetILNS1_3genE4ELNS1_11target_archE910ELNS1_3gpuE8ELNS1_3repE0EEENS1_30default_config_static_selectorELNS0_4arch9wavefront6targetE0EEEvT1_ ; -- Begin function _ZN7rocprim17ROCPRIM_400000_NS6detail17trampoline_kernelINS0_14default_configENS1_27scan_by_key_config_selectorImiEEZZNS1_16scan_by_key_implILNS1_25lookback_scan_determinismE0ELb0ES3_N6thrust23THRUST_200600_302600_NS18transform_iteratorI9row_indexNS9_17counting_iteratorImNS9_11use_defaultESD_SD_EESD_SD_EENS9_6detail15normal_iteratorINS9_10device_ptrIiEEEESK_iNS9_4plusIvEENS9_8equal_toIvEEiEE10hipError_tPvRmT2_T3_T4_T5_mT6_T7_P12ihipStream_tbENKUlT_T0_E_clISt17integral_constantIbLb0EES15_EEDaS10_S11_EUlS10_E_NS1_11comp_targetILNS1_3genE4ELNS1_11target_archE910ELNS1_3gpuE8ELNS1_3repE0EEENS1_30default_config_static_selectorELNS0_4arch9wavefront6targetE0EEEvT1_
	.globl	_ZN7rocprim17ROCPRIM_400000_NS6detail17trampoline_kernelINS0_14default_configENS1_27scan_by_key_config_selectorImiEEZZNS1_16scan_by_key_implILNS1_25lookback_scan_determinismE0ELb0ES3_N6thrust23THRUST_200600_302600_NS18transform_iteratorI9row_indexNS9_17counting_iteratorImNS9_11use_defaultESD_SD_EESD_SD_EENS9_6detail15normal_iteratorINS9_10device_ptrIiEEEESK_iNS9_4plusIvEENS9_8equal_toIvEEiEE10hipError_tPvRmT2_T3_T4_T5_mT6_T7_P12ihipStream_tbENKUlT_T0_E_clISt17integral_constantIbLb0EES15_EEDaS10_S11_EUlS10_E_NS1_11comp_targetILNS1_3genE4ELNS1_11target_archE910ELNS1_3gpuE8ELNS1_3repE0EEENS1_30default_config_static_selectorELNS0_4arch9wavefront6targetE0EEEvT1_
	.p2align	8
	.type	_ZN7rocprim17ROCPRIM_400000_NS6detail17trampoline_kernelINS0_14default_configENS1_27scan_by_key_config_selectorImiEEZZNS1_16scan_by_key_implILNS1_25lookback_scan_determinismE0ELb0ES3_N6thrust23THRUST_200600_302600_NS18transform_iteratorI9row_indexNS9_17counting_iteratorImNS9_11use_defaultESD_SD_EESD_SD_EENS9_6detail15normal_iteratorINS9_10device_ptrIiEEEESK_iNS9_4plusIvEENS9_8equal_toIvEEiEE10hipError_tPvRmT2_T3_T4_T5_mT6_T7_P12ihipStream_tbENKUlT_T0_E_clISt17integral_constantIbLb0EES15_EEDaS10_S11_EUlS10_E_NS1_11comp_targetILNS1_3genE4ELNS1_11target_archE910ELNS1_3gpuE8ELNS1_3repE0EEENS1_30default_config_static_selectorELNS0_4arch9wavefront6targetE0EEEvT1_,@function
_ZN7rocprim17ROCPRIM_400000_NS6detail17trampoline_kernelINS0_14default_configENS1_27scan_by_key_config_selectorImiEEZZNS1_16scan_by_key_implILNS1_25lookback_scan_determinismE0ELb0ES3_N6thrust23THRUST_200600_302600_NS18transform_iteratorI9row_indexNS9_17counting_iteratorImNS9_11use_defaultESD_SD_EESD_SD_EENS9_6detail15normal_iteratorINS9_10device_ptrIiEEEESK_iNS9_4plusIvEENS9_8equal_toIvEEiEE10hipError_tPvRmT2_T3_T4_T5_mT6_T7_P12ihipStream_tbENKUlT_T0_E_clISt17integral_constantIbLb0EES15_EEDaS10_S11_EUlS10_E_NS1_11comp_targetILNS1_3genE4ELNS1_11target_archE910ELNS1_3gpuE8ELNS1_3repE0EEENS1_30default_config_static_selectorELNS0_4arch9wavefront6targetE0EEEvT1_: ; @_ZN7rocprim17ROCPRIM_400000_NS6detail17trampoline_kernelINS0_14default_configENS1_27scan_by_key_config_selectorImiEEZZNS1_16scan_by_key_implILNS1_25lookback_scan_determinismE0ELb0ES3_N6thrust23THRUST_200600_302600_NS18transform_iteratorI9row_indexNS9_17counting_iteratorImNS9_11use_defaultESD_SD_EESD_SD_EENS9_6detail15normal_iteratorINS9_10device_ptrIiEEEESK_iNS9_4plusIvEENS9_8equal_toIvEEiEE10hipError_tPvRmT2_T3_T4_T5_mT6_T7_P12ihipStream_tbENKUlT_T0_E_clISt17integral_constantIbLb0EES15_EEDaS10_S11_EUlS10_E_NS1_11comp_targetILNS1_3genE4ELNS1_11target_archE910ELNS1_3gpuE8ELNS1_3repE0EEENS1_30default_config_static_selectorELNS0_4arch9wavefront6targetE0EEEvT1_
; %bb.0:
	.section	.rodata,"a",@progbits
	.p2align	6, 0x0
	.amdhsa_kernel _ZN7rocprim17ROCPRIM_400000_NS6detail17trampoline_kernelINS0_14default_configENS1_27scan_by_key_config_selectorImiEEZZNS1_16scan_by_key_implILNS1_25lookback_scan_determinismE0ELb0ES3_N6thrust23THRUST_200600_302600_NS18transform_iteratorI9row_indexNS9_17counting_iteratorImNS9_11use_defaultESD_SD_EESD_SD_EENS9_6detail15normal_iteratorINS9_10device_ptrIiEEEESK_iNS9_4plusIvEENS9_8equal_toIvEEiEE10hipError_tPvRmT2_T3_T4_T5_mT6_T7_P12ihipStream_tbENKUlT_T0_E_clISt17integral_constantIbLb0EES15_EEDaS10_S11_EUlS10_E_NS1_11comp_targetILNS1_3genE4ELNS1_11target_archE910ELNS1_3gpuE8ELNS1_3repE0EEENS1_30default_config_static_selectorELNS0_4arch9wavefront6targetE0EEEvT1_
		.amdhsa_group_segment_fixed_size 0
		.amdhsa_private_segment_fixed_size 0
		.amdhsa_kernarg_size 120
		.amdhsa_user_sgpr_count 15
		.amdhsa_user_sgpr_dispatch_ptr 0
		.amdhsa_user_sgpr_queue_ptr 0
		.amdhsa_user_sgpr_kernarg_segment_ptr 1
		.amdhsa_user_sgpr_dispatch_id 0
		.amdhsa_user_sgpr_private_segment_size 0
		.amdhsa_wavefront_size32 1
		.amdhsa_uses_dynamic_stack 0
		.amdhsa_enable_private_segment 0
		.amdhsa_system_sgpr_workgroup_id_x 1
		.amdhsa_system_sgpr_workgroup_id_y 0
		.amdhsa_system_sgpr_workgroup_id_z 0
		.amdhsa_system_sgpr_workgroup_info 0
		.amdhsa_system_vgpr_workitem_id 0
		.amdhsa_next_free_vgpr 1
		.amdhsa_next_free_sgpr 1
		.amdhsa_reserve_vcc 0
		.amdhsa_float_round_mode_32 0
		.amdhsa_float_round_mode_16_64 0
		.amdhsa_float_denorm_mode_32 3
		.amdhsa_float_denorm_mode_16_64 3
		.amdhsa_dx10_clamp 1
		.amdhsa_ieee_mode 1
		.amdhsa_fp16_overflow 0
		.amdhsa_workgroup_processor_mode 1
		.amdhsa_memory_ordered 1
		.amdhsa_forward_progress 0
		.amdhsa_shared_vgpr_count 0
		.amdhsa_exception_fp_ieee_invalid_op 0
		.amdhsa_exception_fp_denorm_src 0
		.amdhsa_exception_fp_ieee_div_zero 0
		.amdhsa_exception_fp_ieee_overflow 0
		.amdhsa_exception_fp_ieee_underflow 0
		.amdhsa_exception_fp_ieee_inexact 0
		.amdhsa_exception_int_div_zero 0
	.end_amdhsa_kernel
	.section	.text._ZN7rocprim17ROCPRIM_400000_NS6detail17trampoline_kernelINS0_14default_configENS1_27scan_by_key_config_selectorImiEEZZNS1_16scan_by_key_implILNS1_25lookback_scan_determinismE0ELb0ES3_N6thrust23THRUST_200600_302600_NS18transform_iteratorI9row_indexNS9_17counting_iteratorImNS9_11use_defaultESD_SD_EESD_SD_EENS9_6detail15normal_iteratorINS9_10device_ptrIiEEEESK_iNS9_4plusIvEENS9_8equal_toIvEEiEE10hipError_tPvRmT2_T3_T4_T5_mT6_T7_P12ihipStream_tbENKUlT_T0_E_clISt17integral_constantIbLb0EES15_EEDaS10_S11_EUlS10_E_NS1_11comp_targetILNS1_3genE4ELNS1_11target_archE910ELNS1_3gpuE8ELNS1_3repE0EEENS1_30default_config_static_selectorELNS0_4arch9wavefront6targetE0EEEvT1_,"axG",@progbits,_ZN7rocprim17ROCPRIM_400000_NS6detail17trampoline_kernelINS0_14default_configENS1_27scan_by_key_config_selectorImiEEZZNS1_16scan_by_key_implILNS1_25lookback_scan_determinismE0ELb0ES3_N6thrust23THRUST_200600_302600_NS18transform_iteratorI9row_indexNS9_17counting_iteratorImNS9_11use_defaultESD_SD_EESD_SD_EENS9_6detail15normal_iteratorINS9_10device_ptrIiEEEESK_iNS9_4plusIvEENS9_8equal_toIvEEiEE10hipError_tPvRmT2_T3_T4_T5_mT6_T7_P12ihipStream_tbENKUlT_T0_E_clISt17integral_constantIbLb0EES15_EEDaS10_S11_EUlS10_E_NS1_11comp_targetILNS1_3genE4ELNS1_11target_archE910ELNS1_3gpuE8ELNS1_3repE0EEENS1_30default_config_static_selectorELNS0_4arch9wavefront6targetE0EEEvT1_,comdat
.Lfunc_end6:
	.size	_ZN7rocprim17ROCPRIM_400000_NS6detail17trampoline_kernelINS0_14default_configENS1_27scan_by_key_config_selectorImiEEZZNS1_16scan_by_key_implILNS1_25lookback_scan_determinismE0ELb0ES3_N6thrust23THRUST_200600_302600_NS18transform_iteratorI9row_indexNS9_17counting_iteratorImNS9_11use_defaultESD_SD_EESD_SD_EENS9_6detail15normal_iteratorINS9_10device_ptrIiEEEESK_iNS9_4plusIvEENS9_8equal_toIvEEiEE10hipError_tPvRmT2_T3_T4_T5_mT6_T7_P12ihipStream_tbENKUlT_T0_E_clISt17integral_constantIbLb0EES15_EEDaS10_S11_EUlS10_E_NS1_11comp_targetILNS1_3genE4ELNS1_11target_archE910ELNS1_3gpuE8ELNS1_3repE0EEENS1_30default_config_static_selectorELNS0_4arch9wavefront6targetE0EEEvT1_, .Lfunc_end6-_ZN7rocprim17ROCPRIM_400000_NS6detail17trampoline_kernelINS0_14default_configENS1_27scan_by_key_config_selectorImiEEZZNS1_16scan_by_key_implILNS1_25lookback_scan_determinismE0ELb0ES3_N6thrust23THRUST_200600_302600_NS18transform_iteratorI9row_indexNS9_17counting_iteratorImNS9_11use_defaultESD_SD_EESD_SD_EENS9_6detail15normal_iteratorINS9_10device_ptrIiEEEESK_iNS9_4plusIvEENS9_8equal_toIvEEiEE10hipError_tPvRmT2_T3_T4_T5_mT6_T7_P12ihipStream_tbENKUlT_T0_E_clISt17integral_constantIbLb0EES15_EEDaS10_S11_EUlS10_E_NS1_11comp_targetILNS1_3genE4ELNS1_11target_archE910ELNS1_3gpuE8ELNS1_3repE0EEENS1_30default_config_static_selectorELNS0_4arch9wavefront6targetE0EEEvT1_
                                        ; -- End function
	.section	.AMDGPU.csdata,"",@progbits
; Kernel info:
; codeLenInByte = 0
; NumSgprs: 0
; NumVgprs: 0
; ScratchSize: 0
; MemoryBound: 0
; FloatMode: 240
; IeeeMode: 1
; LDSByteSize: 0 bytes/workgroup (compile time only)
; SGPRBlocks: 0
; VGPRBlocks: 0
; NumSGPRsForWavesPerEU: 1
; NumVGPRsForWavesPerEU: 1
; Occupancy: 16
; WaveLimiterHint : 0
; COMPUTE_PGM_RSRC2:SCRATCH_EN: 0
; COMPUTE_PGM_RSRC2:USER_SGPR: 15
; COMPUTE_PGM_RSRC2:TRAP_HANDLER: 0
; COMPUTE_PGM_RSRC2:TGID_X_EN: 1
; COMPUTE_PGM_RSRC2:TGID_Y_EN: 0
; COMPUTE_PGM_RSRC2:TGID_Z_EN: 0
; COMPUTE_PGM_RSRC2:TIDIG_COMP_CNT: 0
	.section	.text._ZN7rocprim17ROCPRIM_400000_NS6detail17trampoline_kernelINS0_14default_configENS1_27scan_by_key_config_selectorImiEEZZNS1_16scan_by_key_implILNS1_25lookback_scan_determinismE0ELb0ES3_N6thrust23THRUST_200600_302600_NS18transform_iteratorI9row_indexNS9_17counting_iteratorImNS9_11use_defaultESD_SD_EESD_SD_EENS9_6detail15normal_iteratorINS9_10device_ptrIiEEEESK_iNS9_4plusIvEENS9_8equal_toIvEEiEE10hipError_tPvRmT2_T3_T4_T5_mT6_T7_P12ihipStream_tbENKUlT_T0_E_clISt17integral_constantIbLb0EES15_EEDaS10_S11_EUlS10_E_NS1_11comp_targetILNS1_3genE3ELNS1_11target_archE908ELNS1_3gpuE7ELNS1_3repE0EEENS1_30default_config_static_selectorELNS0_4arch9wavefront6targetE0EEEvT1_,"axG",@progbits,_ZN7rocprim17ROCPRIM_400000_NS6detail17trampoline_kernelINS0_14default_configENS1_27scan_by_key_config_selectorImiEEZZNS1_16scan_by_key_implILNS1_25lookback_scan_determinismE0ELb0ES3_N6thrust23THRUST_200600_302600_NS18transform_iteratorI9row_indexNS9_17counting_iteratorImNS9_11use_defaultESD_SD_EESD_SD_EENS9_6detail15normal_iteratorINS9_10device_ptrIiEEEESK_iNS9_4plusIvEENS9_8equal_toIvEEiEE10hipError_tPvRmT2_T3_T4_T5_mT6_T7_P12ihipStream_tbENKUlT_T0_E_clISt17integral_constantIbLb0EES15_EEDaS10_S11_EUlS10_E_NS1_11comp_targetILNS1_3genE3ELNS1_11target_archE908ELNS1_3gpuE7ELNS1_3repE0EEENS1_30default_config_static_selectorELNS0_4arch9wavefront6targetE0EEEvT1_,comdat
	.protected	_ZN7rocprim17ROCPRIM_400000_NS6detail17trampoline_kernelINS0_14default_configENS1_27scan_by_key_config_selectorImiEEZZNS1_16scan_by_key_implILNS1_25lookback_scan_determinismE0ELb0ES3_N6thrust23THRUST_200600_302600_NS18transform_iteratorI9row_indexNS9_17counting_iteratorImNS9_11use_defaultESD_SD_EESD_SD_EENS9_6detail15normal_iteratorINS9_10device_ptrIiEEEESK_iNS9_4plusIvEENS9_8equal_toIvEEiEE10hipError_tPvRmT2_T3_T4_T5_mT6_T7_P12ihipStream_tbENKUlT_T0_E_clISt17integral_constantIbLb0EES15_EEDaS10_S11_EUlS10_E_NS1_11comp_targetILNS1_3genE3ELNS1_11target_archE908ELNS1_3gpuE7ELNS1_3repE0EEENS1_30default_config_static_selectorELNS0_4arch9wavefront6targetE0EEEvT1_ ; -- Begin function _ZN7rocprim17ROCPRIM_400000_NS6detail17trampoline_kernelINS0_14default_configENS1_27scan_by_key_config_selectorImiEEZZNS1_16scan_by_key_implILNS1_25lookback_scan_determinismE0ELb0ES3_N6thrust23THRUST_200600_302600_NS18transform_iteratorI9row_indexNS9_17counting_iteratorImNS9_11use_defaultESD_SD_EESD_SD_EENS9_6detail15normal_iteratorINS9_10device_ptrIiEEEESK_iNS9_4plusIvEENS9_8equal_toIvEEiEE10hipError_tPvRmT2_T3_T4_T5_mT6_T7_P12ihipStream_tbENKUlT_T0_E_clISt17integral_constantIbLb0EES15_EEDaS10_S11_EUlS10_E_NS1_11comp_targetILNS1_3genE3ELNS1_11target_archE908ELNS1_3gpuE7ELNS1_3repE0EEENS1_30default_config_static_selectorELNS0_4arch9wavefront6targetE0EEEvT1_
	.globl	_ZN7rocprim17ROCPRIM_400000_NS6detail17trampoline_kernelINS0_14default_configENS1_27scan_by_key_config_selectorImiEEZZNS1_16scan_by_key_implILNS1_25lookback_scan_determinismE0ELb0ES3_N6thrust23THRUST_200600_302600_NS18transform_iteratorI9row_indexNS9_17counting_iteratorImNS9_11use_defaultESD_SD_EESD_SD_EENS9_6detail15normal_iteratorINS9_10device_ptrIiEEEESK_iNS9_4plusIvEENS9_8equal_toIvEEiEE10hipError_tPvRmT2_T3_T4_T5_mT6_T7_P12ihipStream_tbENKUlT_T0_E_clISt17integral_constantIbLb0EES15_EEDaS10_S11_EUlS10_E_NS1_11comp_targetILNS1_3genE3ELNS1_11target_archE908ELNS1_3gpuE7ELNS1_3repE0EEENS1_30default_config_static_selectorELNS0_4arch9wavefront6targetE0EEEvT1_
	.p2align	8
	.type	_ZN7rocprim17ROCPRIM_400000_NS6detail17trampoline_kernelINS0_14default_configENS1_27scan_by_key_config_selectorImiEEZZNS1_16scan_by_key_implILNS1_25lookback_scan_determinismE0ELb0ES3_N6thrust23THRUST_200600_302600_NS18transform_iteratorI9row_indexNS9_17counting_iteratorImNS9_11use_defaultESD_SD_EESD_SD_EENS9_6detail15normal_iteratorINS9_10device_ptrIiEEEESK_iNS9_4plusIvEENS9_8equal_toIvEEiEE10hipError_tPvRmT2_T3_T4_T5_mT6_T7_P12ihipStream_tbENKUlT_T0_E_clISt17integral_constantIbLb0EES15_EEDaS10_S11_EUlS10_E_NS1_11comp_targetILNS1_3genE3ELNS1_11target_archE908ELNS1_3gpuE7ELNS1_3repE0EEENS1_30default_config_static_selectorELNS0_4arch9wavefront6targetE0EEEvT1_,@function
_ZN7rocprim17ROCPRIM_400000_NS6detail17trampoline_kernelINS0_14default_configENS1_27scan_by_key_config_selectorImiEEZZNS1_16scan_by_key_implILNS1_25lookback_scan_determinismE0ELb0ES3_N6thrust23THRUST_200600_302600_NS18transform_iteratorI9row_indexNS9_17counting_iteratorImNS9_11use_defaultESD_SD_EESD_SD_EENS9_6detail15normal_iteratorINS9_10device_ptrIiEEEESK_iNS9_4plusIvEENS9_8equal_toIvEEiEE10hipError_tPvRmT2_T3_T4_T5_mT6_T7_P12ihipStream_tbENKUlT_T0_E_clISt17integral_constantIbLb0EES15_EEDaS10_S11_EUlS10_E_NS1_11comp_targetILNS1_3genE3ELNS1_11target_archE908ELNS1_3gpuE7ELNS1_3repE0EEENS1_30default_config_static_selectorELNS0_4arch9wavefront6targetE0EEEvT1_: ; @_ZN7rocprim17ROCPRIM_400000_NS6detail17trampoline_kernelINS0_14default_configENS1_27scan_by_key_config_selectorImiEEZZNS1_16scan_by_key_implILNS1_25lookback_scan_determinismE0ELb0ES3_N6thrust23THRUST_200600_302600_NS18transform_iteratorI9row_indexNS9_17counting_iteratorImNS9_11use_defaultESD_SD_EESD_SD_EENS9_6detail15normal_iteratorINS9_10device_ptrIiEEEESK_iNS9_4plusIvEENS9_8equal_toIvEEiEE10hipError_tPvRmT2_T3_T4_T5_mT6_T7_P12ihipStream_tbENKUlT_T0_E_clISt17integral_constantIbLb0EES15_EEDaS10_S11_EUlS10_E_NS1_11comp_targetILNS1_3genE3ELNS1_11target_archE908ELNS1_3gpuE7ELNS1_3repE0EEENS1_30default_config_static_selectorELNS0_4arch9wavefront6targetE0EEEvT1_
; %bb.0:
	.section	.rodata,"a",@progbits
	.p2align	6, 0x0
	.amdhsa_kernel _ZN7rocprim17ROCPRIM_400000_NS6detail17trampoline_kernelINS0_14default_configENS1_27scan_by_key_config_selectorImiEEZZNS1_16scan_by_key_implILNS1_25lookback_scan_determinismE0ELb0ES3_N6thrust23THRUST_200600_302600_NS18transform_iteratorI9row_indexNS9_17counting_iteratorImNS9_11use_defaultESD_SD_EESD_SD_EENS9_6detail15normal_iteratorINS9_10device_ptrIiEEEESK_iNS9_4plusIvEENS9_8equal_toIvEEiEE10hipError_tPvRmT2_T3_T4_T5_mT6_T7_P12ihipStream_tbENKUlT_T0_E_clISt17integral_constantIbLb0EES15_EEDaS10_S11_EUlS10_E_NS1_11comp_targetILNS1_3genE3ELNS1_11target_archE908ELNS1_3gpuE7ELNS1_3repE0EEENS1_30default_config_static_selectorELNS0_4arch9wavefront6targetE0EEEvT1_
		.amdhsa_group_segment_fixed_size 0
		.amdhsa_private_segment_fixed_size 0
		.amdhsa_kernarg_size 120
		.amdhsa_user_sgpr_count 15
		.amdhsa_user_sgpr_dispatch_ptr 0
		.amdhsa_user_sgpr_queue_ptr 0
		.amdhsa_user_sgpr_kernarg_segment_ptr 1
		.amdhsa_user_sgpr_dispatch_id 0
		.amdhsa_user_sgpr_private_segment_size 0
		.amdhsa_wavefront_size32 1
		.amdhsa_uses_dynamic_stack 0
		.amdhsa_enable_private_segment 0
		.amdhsa_system_sgpr_workgroup_id_x 1
		.amdhsa_system_sgpr_workgroup_id_y 0
		.amdhsa_system_sgpr_workgroup_id_z 0
		.amdhsa_system_sgpr_workgroup_info 0
		.amdhsa_system_vgpr_workitem_id 0
		.amdhsa_next_free_vgpr 1
		.amdhsa_next_free_sgpr 1
		.amdhsa_reserve_vcc 0
		.amdhsa_float_round_mode_32 0
		.amdhsa_float_round_mode_16_64 0
		.amdhsa_float_denorm_mode_32 3
		.amdhsa_float_denorm_mode_16_64 3
		.amdhsa_dx10_clamp 1
		.amdhsa_ieee_mode 1
		.amdhsa_fp16_overflow 0
		.amdhsa_workgroup_processor_mode 1
		.amdhsa_memory_ordered 1
		.amdhsa_forward_progress 0
		.amdhsa_shared_vgpr_count 0
		.amdhsa_exception_fp_ieee_invalid_op 0
		.amdhsa_exception_fp_denorm_src 0
		.amdhsa_exception_fp_ieee_div_zero 0
		.amdhsa_exception_fp_ieee_overflow 0
		.amdhsa_exception_fp_ieee_underflow 0
		.amdhsa_exception_fp_ieee_inexact 0
		.amdhsa_exception_int_div_zero 0
	.end_amdhsa_kernel
	.section	.text._ZN7rocprim17ROCPRIM_400000_NS6detail17trampoline_kernelINS0_14default_configENS1_27scan_by_key_config_selectorImiEEZZNS1_16scan_by_key_implILNS1_25lookback_scan_determinismE0ELb0ES3_N6thrust23THRUST_200600_302600_NS18transform_iteratorI9row_indexNS9_17counting_iteratorImNS9_11use_defaultESD_SD_EESD_SD_EENS9_6detail15normal_iteratorINS9_10device_ptrIiEEEESK_iNS9_4plusIvEENS9_8equal_toIvEEiEE10hipError_tPvRmT2_T3_T4_T5_mT6_T7_P12ihipStream_tbENKUlT_T0_E_clISt17integral_constantIbLb0EES15_EEDaS10_S11_EUlS10_E_NS1_11comp_targetILNS1_3genE3ELNS1_11target_archE908ELNS1_3gpuE7ELNS1_3repE0EEENS1_30default_config_static_selectorELNS0_4arch9wavefront6targetE0EEEvT1_,"axG",@progbits,_ZN7rocprim17ROCPRIM_400000_NS6detail17trampoline_kernelINS0_14default_configENS1_27scan_by_key_config_selectorImiEEZZNS1_16scan_by_key_implILNS1_25lookback_scan_determinismE0ELb0ES3_N6thrust23THRUST_200600_302600_NS18transform_iteratorI9row_indexNS9_17counting_iteratorImNS9_11use_defaultESD_SD_EESD_SD_EENS9_6detail15normal_iteratorINS9_10device_ptrIiEEEESK_iNS9_4plusIvEENS9_8equal_toIvEEiEE10hipError_tPvRmT2_T3_T4_T5_mT6_T7_P12ihipStream_tbENKUlT_T0_E_clISt17integral_constantIbLb0EES15_EEDaS10_S11_EUlS10_E_NS1_11comp_targetILNS1_3genE3ELNS1_11target_archE908ELNS1_3gpuE7ELNS1_3repE0EEENS1_30default_config_static_selectorELNS0_4arch9wavefront6targetE0EEEvT1_,comdat
.Lfunc_end7:
	.size	_ZN7rocprim17ROCPRIM_400000_NS6detail17trampoline_kernelINS0_14default_configENS1_27scan_by_key_config_selectorImiEEZZNS1_16scan_by_key_implILNS1_25lookback_scan_determinismE0ELb0ES3_N6thrust23THRUST_200600_302600_NS18transform_iteratorI9row_indexNS9_17counting_iteratorImNS9_11use_defaultESD_SD_EESD_SD_EENS9_6detail15normal_iteratorINS9_10device_ptrIiEEEESK_iNS9_4plusIvEENS9_8equal_toIvEEiEE10hipError_tPvRmT2_T3_T4_T5_mT6_T7_P12ihipStream_tbENKUlT_T0_E_clISt17integral_constantIbLb0EES15_EEDaS10_S11_EUlS10_E_NS1_11comp_targetILNS1_3genE3ELNS1_11target_archE908ELNS1_3gpuE7ELNS1_3repE0EEENS1_30default_config_static_selectorELNS0_4arch9wavefront6targetE0EEEvT1_, .Lfunc_end7-_ZN7rocprim17ROCPRIM_400000_NS6detail17trampoline_kernelINS0_14default_configENS1_27scan_by_key_config_selectorImiEEZZNS1_16scan_by_key_implILNS1_25lookback_scan_determinismE0ELb0ES3_N6thrust23THRUST_200600_302600_NS18transform_iteratorI9row_indexNS9_17counting_iteratorImNS9_11use_defaultESD_SD_EESD_SD_EENS9_6detail15normal_iteratorINS9_10device_ptrIiEEEESK_iNS9_4plusIvEENS9_8equal_toIvEEiEE10hipError_tPvRmT2_T3_T4_T5_mT6_T7_P12ihipStream_tbENKUlT_T0_E_clISt17integral_constantIbLb0EES15_EEDaS10_S11_EUlS10_E_NS1_11comp_targetILNS1_3genE3ELNS1_11target_archE908ELNS1_3gpuE7ELNS1_3repE0EEENS1_30default_config_static_selectorELNS0_4arch9wavefront6targetE0EEEvT1_
                                        ; -- End function
	.section	.AMDGPU.csdata,"",@progbits
; Kernel info:
; codeLenInByte = 0
; NumSgprs: 0
; NumVgprs: 0
; ScratchSize: 0
; MemoryBound: 0
; FloatMode: 240
; IeeeMode: 1
; LDSByteSize: 0 bytes/workgroup (compile time only)
; SGPRBlocks: 0
; VGPRBlocks: 0
; NumSGPRsForWavesPerEU: 1
; NumVGPRsForWavesPerEU: 1
; Occupancy: 16
; WaveLimiterHint : 0
; COMPUTE_PGM_RSRC2:SCRATCH_EN: 0
; COMPUTE_PGM_RSRC2:USER_SGPR: 15
; COMPUTE_PGM_RSRC2:TRAP_HANDLER: 0
; COMPUTE_PGM_RSRC2:TGID_X_EN: 1
; COMPUTE_PGM_RSRC2:TGID_Y_EN: 0
; COMPUTE_PGM_RSRC2:TGID_Z_EN: 0
; COMPUTE_PGM_RSRC2:TIDIG_COMP_CNT: 0
	.section	.text._ZN7rocprim17ROCPRIM_400000_NS6detail17trampoline_kernelINS0_14default_configENS1_27scan_by_key_config_selectorImiEEZZNS1_16scan_by_key_implILNS1_25lookback_scan_determinismE0ELb0ES3_N6thrust23THRUST_200600_302600_NS18transform_iteratorI9row_indexNS9_17counting_iteratorImNS9_11use_defaultESD_SD_EESD_SD_EENS9_6detail15normal_iteratorINS9_10device_ptrIiEEEESK_iNS9_4plusIvEENS9_8equal_toIvEEiEE10hipError_tPvRmT2_T3_T4_T5_mT6_T7_P12ihipStream_tbENKUlT_T0_E_clISt17integral_constantIbLb0EES15_EEDaS10_S11_EUlS10_E_NS1_11comp_targetILNS1_3genE2ELNS1_11target_archE906ELNS1_3gpuE6ELNS1_3repE0EEENS1_30default_config_static_selectorELNS0_4arch9wavefront6targetE0EEEvT1_,"axG",@progbits,_ZN7rocprim17ROCPRIM_400000_NS6detail17trampoline_kernelINS0_14default_configENS1_27scan_by_key_config_selectorImiEEZZNS1_16scan_by_key_implILNS1_25lookback_scan_determinismE0ELb0ES3_N6thrust23THRUST_200600_302600_NS18transform_iteratorI9row_indexNS9_17counting_iteratorImNS9_11use_defaultESD_SD_EESD_SD_EENS9_6detail15normal_iteratorINS9_10device_ptrIiEEEESK_iNS9_4plusIvEENS9_8equal_toIvEEiEE10hipError_tPvRmT2_T3_T4_T5_mT6_T7_P12ihipStream_tbENKUlT_T0_E_clISt17integral_constantIbLb0EES15_EEDaS10_S11_EUlS10_E_NS1_11comp_targetILNS1_3genE2ELNS1_11target_archE906ELNS1_3gpuE6ELNS1_3repE0EEENS1_30default_config_static_selectorELNS0_4arch9wavefront6targetE0EEEvT1_,comdat
	.protected	_ZN7rocprim17ROCPRIM_400000_NS6detail17trampoline_kernelINS0_14default_configENS1_27scan_by_key_config_selectorImiEEZZNS1_16scan_by_key_implILNS1_25lookback_scan_determinismE0ELb0ES3_N6thrust23THRUST_200600_302600_NS18transform_iteratorI9row_indexNS9_17counting_iteratorImNS9_11use_defaultESD_SD_EESD_SD_EENS9_6detail15normal_iteratorINS9_10device_ptrIiEEEESK_iNS9_4plusIvEENS9_8equal_toIvEEiEE10hipError_tPvRmT2_T3_T4_T5_mT6_T7_P12ihipStream_tbENKUlT_T0_E_clISt17integral_constantIbLb0EES15_EEDaS10_S11_EUlS10_E_NS1_11comp_targetILNS1_3genE2ELNS1_11target_archE906ELNS1_3gpuE6ELNS1_3repE0EEENS1_30default_config_static_selectorELNS0_4arch9wavefront6targetE0EEEvT1_ ; -- Begin function _ZN7rocprim17ROCPRIM_400000_NS6detail17trampoline_kernelINS0_14default_configENS1_27scan_by_key_config_selectorImiEEZZNS1_16scan_by_key_implILNS1_25lookback_scan_determinismE0ELb0ES3_N6thrust23THRUST_200600_302600_NS18transform_iteratorI9row_indexNS9_17counting_iteratorImNS9_11use_defaultESD_SD_EESD_SD_EENS9_6detail15normal_iteratorINS9_10device_ptrIiEEEESK_iNS9_4plusIvEENS9_8equal_toIvEEiEE10hipError_tPvRmT2_T3_T4_T5_mT6_T7_P12ihipStream_tbENKUlT_T0_E_clISt17integral_constantIbLb0EES15_EEDaS10_S11_EUlS10_E_NS1_11comp_targetILNS1_3genE2ELNS1_11target_archE906ELNS1_3gpuE6ELNS1_3repE0EEENS1_30default_config_static_selectorELNS0_4arch9wavefront6targetE0EEEvT1_
	.globl	_ZN7rocprim17ROCPRIM_400000_NS6detail17trampoline_kernelINS0_14default_configENS1_27scan_by_key_config_selectorImiEEZZNS1_16scan_by_key_implILNS1_25lookback_scan_determinismE0ELb0ES3_N6thrust23THRUST_200600_302600_NS18transform_iteratorI9row_indexNS9_17counting_iteratorImNS9_11use_defaultESD_SD_EESD_SD_EENS9_6detail15normal_iteratorINS9_10device_ptrIiEEEESK_iNS9_4plusIvEENS9_8equal_toIvEEiEE10hipError_tPvRmT2_T3_T4_T5_mT6_T7_P12ihipStream_tbENKUlT_T0_E_clISt17integral_constantIbLb0EES15_EEDaS10_S11_EUlS10_E_NS1_11comp_targetILNS1_3genE2ELNS1_11target_archE906ELNS1_3gpuE6ELNS1_3repE0EEENS1_30default_config_static_selectorELNS0_4arch9wavefront6targetE0EEEvT1_
	.p2align	8
	.type	_ZN7rocprim17ROCPRIM_400000_NS6detail17trampoline_kernelINS0_14default_configENS1_27scan_by_key_config_selectorImiEEZZNS1_16scan_by_key_implILNS1_25lookback_scan_determinismE0ELb0ES3_N6thrust23THRUST_200600_302600_NS18transform_iteratorI9row_indexNS9_17counting_iteratorImNS9_11use_defaultESD_SD_EESD_SD_EENS9_6detail15normal_iteratorINS9_10device_ptrIiEEEESK_iNS9_4plusIvEENS9_8equal_toIvEEiEE10hipError_tPvRmT2_T3_T4_T5_mT6_T7_P12ihipStream_tbENKUlT_T0_E_clISt17integral_constantIbLb0EES15_EEDaS10_S11_EUlS10_E_NS1_11comp_targetILNS1_3genE2ELNS1_11target_archE906ELNS1_3gpuE6ELNS1_3repE0EEENS1_30default_config_static_selectorELNS0_4arch9wavefront6targetE0EEEvT1_,@function
_ZN7rocprim17ROCPRIM_400000_NS6detail17trampoline_kernelINS0_14default_configENS1_27scan_by_key_config_selectorImiEEZZNS1_16scan_by_key_implILNS1_25lookback_scan_determinismE0ELb0ES3_N6thrust23THRUST_200600_302600_NS18transform_iteratorI9row_indexNS9_17counting_iteratorImNS9_11use_defaultESD_SD_EESD_SD_EENS9_6detail15normal_iteratorINS9_10device_ptrIiEEEESK_iNS9_4plusIvEENS9_8equal_toIvEEiEE10hipError_tPvRmT2_T3_T4_T5_mT6_T7_P12ihipStream_tbENKUlT_T0_E_clISt17integral_constantIbLb0EES15_EEDaS10_S11_EUlS10_E_NS1_11comp_targetILNS1_3genE2ELNS1_11target_archE906ELNS1_3gpuE6ELNS1_3repE0EEENS1_30default_config_static_selectorELNS0_4arch9wavefront6targetE0EEEvT1_: ; @_ZN7rocprim17ROCPRIM_400000_NS6detail17trampoline_kernelINS0_14default_configENS1_27scan_by_key_config_selectorImiEEZZNS1_16scan_by_key_implILNS1_25lookback_scan_determinismE0ELb0ES3_N6thrust23THRUST_200600_302600_NS18transform_iteratorI9row_indexNS9_17counting_iteratorImNS9_11use_defaultESD_SD_EESD_SD_EENS9_6detail15normal_iteratorINS9_10device_ptrIiEEEESK_iNS9_4plusIvEENS9_8equal_toIvEEiEE10hipError_tPvRmT2_T3_T4_T5_mT6_T7_P12ihipStream_tbENKUlT_T0_E_clISt17integral_constantIbLb0EES15_EEDaS10_S11_EUlS10_E_NS1_11comp_targetILNS1_3genE2ELNS1_11target_archE906ELNS1_3gpuE6ELNS1_3repE0EEENS1_30default_config_static_selectorELNS0_4arch9wavefront6targetE0EEEvT1_
; %bb.0:
	.section	.rodata,"a",@progbits
	.p2align	6, 0x0
	.amdhsa_kernel _ZN7rocprim17ROCPRIM_400000_NS6detail17trampoline_kernelINS0_14default_configENS1_27scan_by_key_config_selectorImiEEZZNS1_16scan_by_key_implILNS1_25lookback_scan_determinismE0ELb0ES3_N6thrust23THRUST_200600_302600_NS18transform_iteratorI9row_indexNS9_17counting_iteratorImNS9_11use_defaultESD_SD_EESD_SD_EENS9_6detail15normal_iteratorINS9_10device_ptrIiEEEESK_iNS9_4plusIvEENS9_8equal_toIvEEiEE10hipError_tPvRmT2_T3_T4_T5_mT6_T7_P12ihipStream_tbENKUlT_T0_E_clISt17integral_constantIbLb0EES15_EEDaS10_S11_EUlS10_E_NS1_11comp_targetILNS1_3genE2ELNS1_11target_archE906ELNS1_3gpuE6ELNS1_3repE0EEENS1_30default_config_static_selectorELNS0_4arch9wavefront6targetE0EEEvT1_
		.amdhsa_group_segment_fixed_size 0
		.amdhsa_private_segment_fixed_size 0
		.amdhsa_kernarg_size 120
		.amdhsa_user_sgpr_count 15
		.amdhsa_user_sgpr_dispatch_ptr 0
		.amdhsa_user_sgpr_queue_ptr 0
		.amdhsa_user_sgpr_kernarg_segment_ptr 1
		.amdhsa_user_sgpr_dispatch_id 0
		.amdhsa_user_sgpr_private_segment_size 0
		.amdhsa_wavefront_size32 1
		.amdhsa_uses_dynamic_stack 0
		.amdhsa_enable_private_segment 0
		.amdhsa_system_sgpr_workgroup_id_x 1
		.amdhsa_system_sgpr_workgroup_id_y 0
		.amdhsa_system_sgpr_workgroup_id_z 0
		.amdhsa_system_sgpr_workgroup_info 0
		.amdhsa_system_vgpr_workitem_id 0
		.amdhsa_next_free_vgpr 1
		.amdhsa_next_free_sgpr 1
		.amdhsa_reserve_vcc 0
		.amdhsa_float_round_mode_32 0
		.amdhsa_float_round_mode_16_64 0
		.amdhsa_float_denorm_mode_32 3
		.amdhsa_float_denorm_mode_16_64 3
		.amdhsa_dx10_clamp 1
		.amdhsa_ieee_mode 1
		.amdhsa_fp16_overflow 0
		.amdhsa_workgroup_processor_mode 1
		.amdhsa_memory_ordered 1
		.amdhsa_forward_progress 0
		.amdhsa_shared_vgpr_count 0
		.amdhsa_exception_fp_ieee_invalid_op 0
		.amdhsa_exception_fp_denorm_src 0
		.amdhsa_exception_fp_ieee_div_zero 0
		.amdhsa_exception_fp_ieee_overflow 0
		.amdhsa_exception_fp_ieee_underflow 0
		.amdhsa_exception_fp_ieee_inexact 0
		.amdhsa_exception_int_div_zero 0
	.end_amdhsa_kernel
	.section	.text._ZN7rocprim17ROCPRIM_400000_NS6detail17trampoline_kernelINS0_14default_configENS1_27scan_by_key_config_selectorImiEEZZNS1_16scan_by_key_implILNS1_25lookback_scan_determinismE0ELb0ES3_N6thrust23THRUST_200600_302600_NS18transform_iteratorI9row_indexNS9_17counting_iteratorImNS9_11use_defaultESD_SD_EESD_SD_EENS9_6detail15normal_iteratorINS9_10device_ptrIiEEEESK_iNS9_4plusIvEENS9_8equal_toIvEEiEE10hipError_tPvRmT2_T3_T4_T5_mT6_T7_P12ihipStream_tbENKUlT_T0_E_clISt17integral_constantIbLb0EES15_EEDaS10_S11_EUlS10_E_NS1_11comp_targetILNS1_3genE2ELNS1_11target_archE906ELNS1_3gpuE6ELNS1_3repE0EEENS1_30default_config_static_selectorELNS0_4arch9wavefront6targetE0EEEvT1_,"axG",@progbits,_ZN7rocprim17ROCPRIM_400000_NS6detail17trampoline_kernelINS0_14default_configENS1_27scan_by_key_config_selectorImiEEZZNS1_16scan_by_key_implILNS1_25lookback_scan_determinismE0ELb0ES3_N6thrust23THRUST_200600_302600_NS18transform_iteratorI9row_indexNS9_17counting_iteratorImNS9_11use_defaultESD_SD_EESD_SD_EENS9_6detail15normal_iteratorINS9_10device_ptrIiEEEESK_iNS9_4plusIvEENS9_8equal_toIvEEiEE10hipError_tPvRmT2_T3_T4_T5_mT6_T7_P12ihipStream_tbENKUlT_T0_E_clISt17integral_constantIbLb0EES15_EEDaS10_S11_EUlS10_E_NS1_11comp_targetILNS1_3genE2ELNS1_11target_archE906ELNS1_3gpuE6ELNS1_3repE0EEENS1_30default_config_static_selectorELNS0_4arch9wavefront6targetE0EEEvT1_,comdat
.Lfunc_end8:
	.size	_ZN7rocprim17ROCPRIM_400000_NS6detail17trampoline_kernelINS0_14default_configENS1_27scan_by_key_config_selectorImiEEZZNS1_16scan_by_key_implILNS1_25lookback_scan_determinismE0ELb0ES3_N6thrust23THRUST_200600_302600_NS18transform_iteratorI9row_indexNS9_17counting_iteratorImNS9_11use_defaultESD_SD_EESD_SD_EENS9_6detail15normal_iteratorINS9_10device_ptrIiEEEESK_iNS9_4plusIvEENS9_8equal_toIvEEiEE10hipError_tPvRmT2_T3_T4_T5_mT6_T7_P12ihipStream_tbENKUlT_T0_E_clISt17integral_constantIbLb0EES15_EEDaS10_S11_EUlS10_E_NS1_11comp_targetILNS1_3genE2ELNS1_11target_archE906ELNS1_3gpuE6ELNS1_3repE0EEENS1_30default_config_static_selectorELNS0_4arch9wavefront6targetE0EEEvT1_, .Lfunc_end8-_ZN7rocprim17ROCPRIM_400000_NS6detail17trampoline_kernelINS0_14default_configENS1_27scan_by_key_config_selectorImiEEZZNS1_16scan_by_key_implILNS1_25lookback_scan_determinismE0ELb0ES3_N6thrust23THRUST_200600_302600_NS18transform_iteratorI9row_indexNS9_17counting_iteratorImNS9_11use_defaultESD_SD_EESD_SD_EENS9_6detail15normal_iteratorINS9_10device_ptrIiEEEESK_iNS9_4plusIvEENS9_8equal_toIvEEiEE10hipError_tPvRmT2_T3_T4_T5_mT6_T7_P12ihipStream_tbENKUlT_T0_E_clISt17integral_constantIbLb0EES15_EEDaS10_S11_EUlS10_E_NS1_11comp_targetILNS1_3genE2ELNS1_11target_archE906ELNS1_3gpuE6ELNS1_3repE0EEENS1_30default_config_static_selectorELNS0_4arch9wavefront6targetE0EEEvT1_
                                        ; -- End function
	.section	.AMDGPU.csdata,"",@progbits
; Kernel info:
; codeLenInByte = 0
; NumSgprs: 0
; NumVgprs: 0
; ScratchSize: 0
; MemoryBound: 0
; FloatMode: 240
; IeeeMode: 1
; LDSByteSize: 0 bytes/workgroup (compile time only)
; SGPRBlocks: 0
; VGPRBlocks: 0
; NumSGPRsForWavesPerEU: 1
; NumVGPRsForWavesPerEU: 1
; Occupancy: 16
; WaveLimiterHint : 0
; COMPUTE_PGM_RSRC2:SCRATCH_EN: 0
; COMPUTE_PGM_RSRC2:USER_SGPR: 15
; COMPUTE_PGM_RSRC2:TRAP_HANDLER: 0
; COMPUTE_PGM_RSRC2:TGID_X_EN: 1
; COMPUTE_PGM_RSRC2:TGID_Y_EN: 0
; COMPUTE_PGM_RSRC2:TGID_Z_EN: 0
; COMPUTE_PGM_RSRC2:TIDIG_COMP_CNT: 0
	.section	.text._ZN7rocprim17ROCPRIM_400000_NS6detail17trampoline_kernelINS0_14default_configENS1_27scan_by_key_config_selectorImiEEZZNS1_16scan_by_key_implILNS1_25lookback_scan_determinismE0ELb0ES3_N6thrust23THRUST_200600_302600_NS18transform_iteratorI9row_indexNS9_17counting_iteratorImNS9_11use_defaultESD_SD_EESD_SD_EENS9_6detail15normal_iteratorINS9_10device_ptrIiEEEESK_iNS9_4plusIvEENS9_8equal_toIvEEiEE10hipError_tPvRmT2_T3_T4_T5_mT6_T7_P12ihipStream_tbENKUlT_T0_E_clISt17integral_constantIbLb0EES15_EEDaS10_S11_EUlS10_E_NS1_11comp_targetILNS1_3genE10ELNS1_11target_archE1200ELNS1_3gpuE4ELNS1_3repE0EEENS1_30default_config_static_selectorELNS0_4arch9wavefront6targetE0EEEvT1_,"axG",@progbits,_ZN7rocprim17ROCPRIM_400000_NS6detail17trampoline_kernelINS0_14default_configENS1_27scan_by_key_config_selectorImiEEZZNS1_16scan_by_key_implILNS1_25lookback_scan_determinismE0ELb0ES3_N6thrust23THRUST_200600_302600_NS18transform_iteratorI9row_indexNS9_17counting_iteratorImNS9_11use_defaultESD_SD_EESD_SD_EENS9_6detail15normal_iteratorINS9_10device_ptrIiEEEESK_iNS9_4plusIvEENS9_8equal_toIvEEiEE10hipError_tPvRmT2_T3_T4_T5_mT6_T7_P12ihipStream_tbENKUlT_T0_E_clISt17integral_constantIbLb0EES15_EEDaS10_S11_EUlS10_E_NS1_11comp_targetILNS1_3genE10ELNS1_11target_archE1200ELNS1_3gpuE4ELNS1_3repE0EEENS1_30default_config_static_selectorELNS0_4arch9wavefront6targetE0EEEvT1_,comdat
	.protected	_ZN7rocprim17ROCPRIM_400000_NS6detail17trampoline_kernelINS0_14default_configENS1_27scan_by_key_config_selectorImiEEZZNS1_16scan_by_key_implILNS1_25lookback_scan_determinismE0ELb0ES3_N6thrust23THRUST_200600_302600_NS18transform_iteratorI9row_indexNS9_17counting_iteratorImNS9_11use_defaultESD_SD_EESD_SD_EENS9_6detail15normal_iteratorINS9_10device_ptrIiEEEESK_iNS9_4plusIvEENS9_8equal_toIvEEiEE10hipError_tPvRmT2_T3_T4_T5_mT6_T7_P12ihipStream_tbENKUlT_T0_E_clISt17integral_constantIbLb0EES15_EEDaS10_S11_EUlS10_E_NS1_11comp_targetILNS1_3genE10ELNS1_11target_archE1200ELNS1_3gpuE4ELNS1_3repE0EEENS1_30default_config_static_selectorELNS0_4arch9wavefront6targetE0EEEvT1_ ; -- Begin function _ZN7rocprim17ROCPRIM_400000_NS6detail17trampoline_kernelINS0_14default_configENS1_27scan_by_key_config_selectorImiEEZZNS1_16scan_by_key_implILNS1_25lookback_scan_determinismE0ELb0ES3_N6thrust23THRUST_200600_302600_NS18transform_iteratorI9row_indexNS9_17counting_iteratorImNS9_11use_defaultESD_SD_EESD_SD_EENS9_6detail15normal_iteratorINS9_10device_ptrIiEEEESK_iNS9_4plusIvEENS9_8equal_toIvEEiEE10hipError_tPvRmT2_T3_T4_T5_mT6_T7_P12ihipStream_tbENKUlT_T0_E_clISt17integral_constantIbLb0EES15_EEDaS10_S11_EUlS10_E_NS1_11comp_targetILNS1_3genE10ELNS1_11target_archE1200ELNS1_3gpuE4ELNS1_3repE0EEENS1_30default_config_static_selectorELNS0_4arch9wavefront6targetE0EEEvT1_
	.globl	_ZN7rocprim17ROCPRIM_400000_NS6detail17trampoline_kernelINS0_14default_configENS1_27scan_by_key_config_selectorImiEEZZNS1_16scan_by_key_implILNS1_25lookback_scan_determinismE0ELb0ES3_N6thrust23THRUST_200600_302600_NS18transform_iteratorI9row_indexNS9_17counting_iteratorImNS9_11use_defaultESD_SD_EESD_SD_EENS9_6detail15normal_iteratorINS9_10device_ptrIiEEEESK_iNS9_4plusIvEENS9_8equal_toIvEEiEE10hipError_tPvRmT2_T3_T4_T5_mT6_T7_P12ihipStream_tbENKUlT_T0_E_clISt17integral_constantIbLb0EES15_EEDaS10_S11_EUlS10_E_NS1_11comp_targetILNS1_3genE10ELNS1_11target_archE1200ELNS1_3gpuE4ELNS1_3repE0EEENS1_30default_config_static_selectorELNS0_4arch9wavefront6targetE0EEEvT1_
	.p2align	8
	.type	_ZN7rocprim17ROCPRIM_400000_NS6detail17trampoline_kernelINS0_14default_configENS1_27scan_by_key_config_selectorImiEEZZNS1_16scan_by_key_implILNS1_25lookback_scan_determinismE0ELb0ES3_N6thrust23THRUST_200600_302600_NS18transform_iteratorI9row_indexNS9_17counting_iteratorImNS9_11use_defaultESD_SD_EESD_SD_EENS9_6detail15normal_iteratorINS9_10device_ptrIiEEEESK_iNS9_4plusIvEENS9_8equal_toIvEEiEE10hipError_tPvRmT2_T3_T4_T5_mT6_T7_P12ihipStream_tbENKUlT_T0_E_clISt17integral_constantIbLb0EES15_EEDaS10_S11_EUlS10_E_NS1_11comp_targetILNS1_3genE10ELNS1_11target_archE1200ELNS1_3gpuE4ELNS1_3repE0EEENS1_30default_config_static_selectorELNS0_4arch9wavefront6targetE0EEEvT1_,@function
_ZN7rocprim17ROCPRIM_400000_NS6detail17trampoline_kernelINS0_14default_configENS1_27scan_by_key_config_selectorImiEEZZNS1_16scan_by_key_implILNS1_25lookback_scan_determinismE0ELb0ES3_N6thrust23THRUST_200600_302600_NS18transform_iteratorI9row_indexNS9_17counting_iteratorImNS9_11use_defaultESD_SD_EESD_SD_EENS9_6detail15normal_iteratorINS9_10device_ptrIiEEEESK_iNS9_4plusIvEENS9_8equal_toIvEEiEE10hipError_tPvRmT2_T3_T4_T5_mT6_T7_P12ihipStream_tbENKUlT_T0_E_clISt17integral_constantIbLb0EES15_EEDaS10_S11_EUlS10_E_NS1_11comp_targetILNS1_3genE10ELNS1_11target_archE1200ELNS1_3gpuE4ELNS1_3repE0EEENS1_30default_config_static_selectorELNS0_4arch9wavefront6targetE0EEEvT1_: ; @_ZN7rocprim17ROCPRIM_400000_NS6detail17trampoline_kernelINS0_14default_configENS1_27scan_by_key_config_selectorImiEEZZNS1_16scan_by_key_implILNS1_25lookback_scan_determinismE0ELb0ES3_N6thrust23THRUST_200600_302600_NS18transform_iteratorI9row_indexNS9_17counting_iteratorImNS9_11use_defaultESD_SD_EESD_SD_EENS9_6detail15normal_iteratorINS9_10device_ptrIiEEEESK_iNS9_4plusIvEENS9_8equal_toIvEEiEE10hipError_tPvRmT2_T3_T4_T5_mT6_T7_P12ihipStream_tbENKUlT_T0_E_clISt17integral_constantIbLb0EES15_EEDaS10_S11_EUlS10_E_NS1_11comp_targetILNS1_3genE10ELNS1_11target_archE1200ELNS1_3gpuE4ELNS1_3repE0EEENS1_30default_config_static_selectorELNS0_4arch9wavefront6targetE0EEEvT1_
; %bb.0:
	.section	.rodata,"a",@progbits
	.p2align	6, 0x0
	.amdhsa_kernel _ZN7rocprim17ROCPRIM_400000_NS6detail17trampoline_kernelINS0_14default_configENS1_27scan_by_key_config_selectorImiEEZZNS1_16scan_by_key_implILNS1_25lookback_scan_determinismE0ELb0ES3_N6thrust23THRUST_200600_302600_NS18transform_iteratorI9row_indexNS9_17counting_iteratorImNS9_11use_defaultESD_SD_EESD_SD_EENS9_6detail15normal_iteratorINS9_10device_ptrIiEEEESK_iNS9_4plusIvEENS9_8equal_toIvEEiEE10hipError_tPvRmT2_T3_T4_T5_mT6_T7_P12ihipStream_tbENKUlT_T0_E_clISt17integral_constantIbLb0EES15_EEDaS10_S11_EUlS10_E_NS1_11comp_targetILNS1_3genE10ELNS1_11target_archE1200ELNS1_3gpuE4ELNS1_3repE0EEENS1_30default_config_static_selectorELNS0_4arch9wavefront6targetE0EEEvT1_
		.amdhsa_group_segment_fixed_size 0
		.amdhsa_private_segment_fixed_size 0
		.amdhsa_kernarg_size 120
		.amdhsa_user_sgpr_count 15
		.amdhsa_user_sgpr_dispatch_ptr 0
		.amdhsa_user_sgpr_queue_ptr 0
		.amdhsa_user_sgpr_kernarg_segment_ptr 1
		.amdhsa_user_sgpr_dispatch_id 0
		.amdhsa_user_sgpr_private_segment_size 0
		.amdhsa_wavefront_size32 1
		.amdhsa_uses_dynamic_stack 0
		.amdhsa_enable_private_segment 0
		.amdhsa_system_sgpr_workgroup_id_x 1
		.amdhsa_system_sgpr_workgroup_id_y 0
		.amdhsa_system_sgpr_workgroup_id_z 0
		.amdhsa_system_sgpr_workgroup_info 0
		.amdhsa_system_vgpr_workitem_id 0
		.amdhsa_next_free_vgpr 1
		.amdhsa_next_free_sgpr 1
		.amdhsa_reserve_vcc 0
		.amdhsa_float_round_mode_32 0
		.amdhsa_float_round_mode_16_64 0
		.amdhsa_float_denorm_mode_32 3
		.amdhsa_float_denorm_mode_16_64 3
		.amdhsa_dx10_clamp 1
		.amdhsa_ieee_mode 1
		.amdhsa_fp16_overflow 0
		.amdhsa_workgroup_processor_mode 1
		.amdhsa_memory_ordered 1
		.amdhsa_forward_progress 0
		.amdhsa_shared_vgpr_count 0
		.amdhsa_exception_fp_ieee_invalid_op 0
		.amdhsa_exception_fp_denorm_src 0
		.amdhsa_exception_fp_ieee_div_zero 0
		.amdhsa_exception_fp_ieee_overflow 0
		.amdhsa_exception_fp_ieee_underflow 0
		.amdhsa_exception_fp_ieee_inexact 0
		.amdhsa_exception_int_div_zero 0
	.end_amdhsa_kernel
	.section	.text._ZN7rocprim17ROCPRIM_400000_NS6detail17trampoline_kernelINS0_14default_configENS1_27scan_by_key_config_selectorImiEEZZNS1_16scan_by_key_implILNS1_25lookback_scan_determinismE0ELb0ES3_N6thrust23THRUST_200600_302600_NS18transform_iteratorI9row_indexNS9_17counting_iteratorImNS9_11use_defaultESD_SD_EESD_SD_EENS9_6detail15normal_iteratorINS9_10device_ptrIiEEEESK_iNS9_4plusIvEENS9_8equal_toIvEEiEE10hipError_tPvRmT2_T3_T4_T5_mT6_T7_P12ihipStream_tbENKUlT_T0_E_clISt17integral_constantIbLb0EES15_EEDaS10_S11_EUlS10_E_NS1_11comp_targetILNS1_3genE10ELNS1_11target_archE1200ELNS1_3gpuE4ELNS1_3repE0EEENS1_30default_config_static_selectorELNS0_4arch9wavefront6targetE0EEEvT1_,"axG",@progbits,_ZN7rocprim17ROCPRIM_400000_NS6detail17trampoline_kernelINS0_14default_configENS1_27scan_by_key_config_selectorImiEEZZNS1_16scan_by_key_implILNS1_25lookback_scan_determinismE0ELb0ES3_N6thrust23THRUST_200600_302600_NS18transform_iteratorI9row_indexNS9_17counting_iteratorImNS9_11use_defaultESD_SD_EESD_SD_EENS9_6detail15normal_iteratorINS9_10device_ptrIiEEEESK_iNS9_4plusIvEENS9_8equal_toIvEEiEE10hipError_tPvRmT2_T3_T4_T5_mT6_T7_P12ihipStream_tbENKUlT_T0_E_clISt17integral_constantIbLb0EES15_EEDaS10_S11_EUlS10_E_NS1_11comp_targetILNS1_3genE10ELNS1_11target_archE1200ELNS1_3gpuE4ELNS1_3repE0EEENS1_30default_config_static_selectorELNS0_4arch9wavefront6targetE0EEEvT1_,comdat
.Lfunc_end9:
	.size	_ZN7rocprim17ROCPRIM_400000_NS6detail17trampoline_kernelINS0_14default_configENS1_27scan_by_key_config_selectorImiEEZZNS1_16scan_by_key_implILNS1_25lookback_scan_determinismE0ELb0ES3_N6thrust23THRUST_200600_302600_NS18transform_iteratorI9row_indexNS9_17counting_iteratorImNS9_11use_defaultESD_SD_EESD_SD_EENS9_6detail15normal_iteratorINS9_10device_ptrIiEEEESK_iNS9_4plusIvEENS9_8equal_toIvEEiEE10hipError_tPvRmT2_T3_T4_T5_mT6_T7_P12ihipStream_tbENKUlT_T0_E_clISt17integral_constantIbLb0EES15_EEDaS10_S11_EUlS10_E_NS1_11comp_targetILNS1_3genE10ELNS1_11target_archE1200ELNS1_3gpuE4ELNS1_3repE0EEENS1_30default_config_static_selectorELNS0_4arch9wavefront6targetE0EEEvT1_, .Lfunc_end9-_ZN7rocprim17ROCPRIM_400000_NS6detail17trampoline_kernelINS0_14default_configENS1_27scan_by_key_config_selectorImiEEZZNS1_16scan_by_key_implILNS1_25lookback_scan_determinismE0ELb0ES3_N6thrust23THRUST_200600_302600_NS18transform_iteratorI9row_indexNS9_17counting_iteratorImNS9_11use_defaultESD_SD_EESD_SD_EENS9_6detail15normal_iteratorINS9_10device_ptrIiEEEESK_iNS9_4plusIvEENS9_8equal_toIvEEiEE10hipError_tPvRmT2_T3_T4_T5_mT6_T7_P12ihipStream_tbENKUlT_T0_E_clISt17integral_constantIbLb0EES15_EEDaS10_S11_EUlS10_E_NS1_11comp_targetILNS1_3genE10ELNS1_11target_archE1200ELNS1_3gpuE4ELNS1_3repE0EEENS1_30default_config_static_selectorELNS0_4arch9wavefront6targetE0EEEvT1_
                                        ; -- End function
	.section	.AMDGPU.csdata,"",@progbits
; Kernel info:
; codeLenInByte = 0
; NumSgprs: 0
; NumVgprs: 0
; ScratchSize: 0
; MemoryBound: 0
; FloatMode: 240
; IeeeMode: 1
; LDSByteSize: 0 bytes/workgroup (compile time only)
; SGPRBlocks: 0
; VGPRBlocks: 0
; NumSGPRsForWavesPerEU: 1
; NumVGPRsForWavesPerEU: 1
; Occupancy: 16
; WaveLimiterHint : 0
; COMPUTE_PGM_RSRC2:SCRATCH_EN: 0
; COMPUTE_PGM_RSRC2:USER_SGPR: 15
; COMPUTE_PGM_RSRC2:TRAP_HANDLER: 0
; COMPUTE_PGM_RSRC2:TGID_X_EN: 1
; COMPUTE_PGM_RSRC2:TGID_Y_EN: 0
; COMPUTE_PGM_RSRC2:TGID_Z_EN: 0
; COMPUTE_PGM_RSRC2:TIDIG_COMP_CNT: 0
	.section	.text._ZN7rocprim17ROCPRIM_400000_NS6detail17trampoline_kernelINS0_14default_configENS1_27scan_by_key_config_selectorImiEEZZNS1_16scan_by_key_implILNS1_25lookback_scan_determinismE0ELb0ES3_N6thrust23THRUST_200600_302600_NS18transform_iteratorI9row_indexNS9_17counting_iteratorImNS9_11use_defaultESD_SD_EESD_SD_EENS9_6detail15normal_iteratorINS9_10device_ptrIiEEEESK_iNS9_4plusIvEENS9_8equal_toIvEEiEE10hipError_tPvRmT2_T3_T4_T5_mT6_T7_P12ihipStream_tbENKUlT_T0_E_clISt17integral_constantIbLb0EES15_EEDaS10_S11_EUlS10_E_NS1_11comp_targetILNS1_3genE9ELNS1_11target_archE1100ELNS1_3gpuE3ELNS1_3repE0EEENS1_30default_config_static_selectorELNS0_4arch9wavefront6targetE0EEEvT1_,"axG",@progbits,_ZN7rocprim17ROCPRIM_400000_NS6detail17trampoline_kernelINS0_14default_configENS1_27scan_by_key_config_selectorImiEEZZNS1_16scan_by_key_implILNS1_25lookback_scan_determinismE0ELb0ES3_N6thrust23THRUST_200600_302600_NS18transform_iteratorI9row_indexNS9_17counting_iteratorImNS9_11use_defaultESD_SD_EESD_SD_EENS9_6detail15normal_iteratorINS9_10device_ptrIiEEEESK_iNS9_4plusIvEENS9_8equal_toIvEEiEE10hipError_tPvRmT2_T3_T4_T5_mT6_T7_P12ihipStream_tbENKUlT_T0_E_clISt17integral_constantIbLb0EES15_EEDaS10_S11_EUlS10_E_NS1_11comp_targetILNS1_3genE9ELNS1_11target_archE1100ELNS1_3gpuE3ELNS1_3repE0EEENS1_30default_config_static_selectorELNS0_4arch9wavefront6targetE0EEEvT1_,comdat
	.protected	_ZN7rocprim17ROCPRIM_400000_NS6detail17trampoline_kernelINS0_14default_configENS1_27scan_by_key_config_selectorImiEEZZNS1_16scan_by_key_implILNS1_25lookback_scan_determinismE0ELb0ES3_N6thrust23THRUST_200600_302600_NS18transform_iteratorI9row_indexNS9_17counting_iteratorImNS9_11use_defaultESD_SD_EESD_SD_EENS9_6detail15normal_iteratorINS9_10device_ptrIiEEEESK_iNS9_4plusIvEENS9_8equal_toIvEEiEE10hipError_tPvRmT2_T3_T4_T5_mT6_T7_P12ihipStream_tbENKUlT_T0_E_clISt17integral_constantIbLb0EES15_EEDaS10_S11_EUlS10_E_NS1_11comp_targetILNS1_3genE9ELNS1_11target_archE1100ELNS1_3gpuE3ELNS1_3repE0EEENS1_30default_config_static_selectorELNS0_4arch9wavefront6targetE0EEEvT1_ ; -- Begin function _ZN7rocprim17ROCPRIM_400000_NS6detail17trampoline_kernelINS0_14default_configENS1_27scan_by_key_config_selectorImiEEZZNS1_16scan_by_key_implILNS1_25lookback_scan_determinismE0ELb0ES3_N6thrust23THRUST_200600_302600_NS18transform_iteratorI9row_indexNS9_17counting_iteratorImNS9_11use_defaultESD_SD_EESD_SD_EENS9_6detail15normal_iteratorINS9_10device_ptrIiEEEESK_iNS9_4plusIvEENS9_8equal_toIvEEiEE10hipError_tPvRmT2_T3_T4_T5_mT6_T7_P12ihipStream_tbENKUlT_T0_E_clISt17integral_constantIbLb0EES15_EEDaS10_S11_EUlS10_E_NS1_11comp_targetILNS1_3genE9ELNS1_11target_archE1100ELNS1_3gpuE3ELNS1_3repE0EEENS1_30default_config_static_selectorELNS0_4arch9wavefront6targetE0EEEvT1_
	.globl	_ZN7rocprim17ROCPRIM_400000_NS6detail17trampoline_kernelINS0_14default_configENS1_27scan_by_key_config_selectorImiEEZZNS1_16scan_by_key_implILNS1_25lookback_scan_determinismE0ELb0ES3_N6thrust23THRUST_200600_302600_NS18transform_iteratorI9row_indexNS9_17counting_iteratorImNS9_11use_defaultESD_SD_EESD_SD_EENS9_6detail15normal_iteratorINS9_10device_ptrIiEEEESK_iNS9_4plusIvEENS9_8equal_toIvEEiEE10hipError_tPvRmT2_T3_T4_T5_mT6_T7_P12ihipStream_tbENKUlT_T0_E_clISt17integral_constantIbLb0EES15_EEDaS10_S11_EUlS10_E_NS1_11comp_targetILNS1_3genE9ELNS1_11target_archE1100ELNS1_3gpuE3ELNS1_3repE0EEENS1_30default_config_static_selectorELNS0_4arch9wavefront6targetE0EEEvT1_
	.p2align	8
	.type	_ZN7rocprim17ROCPRIM_400000_NS6detail17trampoline_kernelINS0_14default_configENS1_27scan_by_key_config_selectorImiEEZZNS1_16scan_by_key_implILNS1_25lookback_scan_determinismE0ELb0ES3_N6thrust23THRUST_200600_302600_NS18transform_iteratorI9row_indexNS9_17counting_iteratorImNS9_11use_defaultESD_SD_EESD_SD_EENS9_6detail15normal_iteratorINS9_10device_ptrIiEEEESK_iNS9_4plusIvEENS9_8equal_toIvEEiEE10hipError_tPvRmT2_T3_T4_T5_mT6_T7_P12ihipStream_tbENKUlT_T0_E_clISt17integral_constantIbLb0EES15_EEDaS10_S11_EUlS10_E_NS1_11comp_targetILNS1_3genE9ELNS1_11target_archE1100ELNS1_3gpuE3ELNS1_3repE0EEENS1_30default_config_static_selectorELNS0_4arch9wavefront6targetE0EEEvT1_,@function
_ZN7rocprim17ROCPRIM_400000_NS6detail17trampoline_kernelINS0_14default_configENS1_27scan_by_key_config_selectorImiEEZZNS1_16scan_by_key_implILNS1_25lookback_scan_determinismE0ELb0ES3_N6thrust23THRUST_200600_302600_NS18transform_iteratorI9row_indexNS9_17counting_iteratorImNS9_11use_defaultESD_SD_EESD_SD_EENS9_6detail15normal_iteratorINS9_10device_ptrIiEEEESK_iNS9_4plusIvEENS9_8equal_toIvEEiEE10hipError_tPvRmT2_T3_T4_T5_mT6_T7_P12ihipStream_tbENKUlT_T0_E_clISt17integral_constantIbLb0EES15_EEDaS10_S11_EUlS10_E_NS1_11comp_targetILNS1_3genE9ELNS1_11target_archE1100ELNS1_3gpuE3ELNS1_3repE0EEENS1_30default_config_static_selectorELNS0_4arch9wavefront6targetE0EEEvT1_: ; @_ZN7rocprim17ROCPRIM_400000_NS6detail17trampoline_kernelINS0_14default_configENS1_27scan_by_key_config_selectorImiEEZZNS1_16scan_by_key_implILNS1_25lookback_scan_determinismE0ELb0ES3_N6thrust23THRUST_200600_302600_NS18transform_iteratorI9row_indexNS9_17counting_iteratorImNS9_11use_defaultESD_SD_EESD_SD_EENS9_6detail15normal_iteratorINS9_10device_ptrIiEEEESK_iNS9_4plusIvEENS9_8equal_toIvEEiEE10hipError_tPvRmT2_T3_T4_T5_mT6_T7_P12ihipStream_tbENKUlT_T0_E_clISt17integral_constantIbLb0EES15_EEDaS10_S11_EUlS10_E_NS1_11comp_targetILNS1_3genE9ELNS1_11target_archE1100ELNS1_3gpuE3ELNS1_3repE0EEENS1_30default_config_static_selectorELNS0_4arch9wavefront6targetE0EEEvT1_
; %bb.0:
	s_clause 0x4
	s_load_b256 s[36:43], s[0:1], 0x0
	s_load_b64 s[44:45], s[0:1], 0x40
	s_load_b32 s4, s[0:1], 0x48
	s_load_b256 s[20:27], s[0:1], 0x50
	s_load_b128 s[28:31], s[0:1], 0x30
	s_waitcnt lgkmcnt(0)
	s_barrier
	buffer_gl0_inv
	s_lshl_b64 s[34:35], s[40:41], 2
	s_mul_i32 s2, s45, s4
	s_mul_hi_u32 s3, s44, s4
	s_add_u32 s5, s42, s34
	s_addc_u32 s6, s43, s35
	s_add_i32 s7, s3, s2
	s_cmp_lg_u64 s[24:25], 0
	s_mov_b32 s3, 0
	s_cselect_b32 s48, -1, 0
	s_lshl_b32 s2, s15, 12
	s_delay_alu instid0(SALU_CYCLE_1)
	s_add_u32 s8, s36, s2
	s_addc_u32 s9, s37, 0
	s_add_u32 s36, s8, s40
	s_addc_u32 s37, s9, s41
	s_lshl_b64 s[24:25], s[2:3], 2
	s_mul_i32 s2, s44, s4
	s_add_u32 s31, s5, s24
	s_addc_u32 s33, s6, s25
	s_add_u32 s40, s2, s15
	s_addc_u32 s41, s7, 0
	s_add_u32 s20, s20, -1
	s_addc_u32 s21, s21, -1
	s_delay_alu instid0(SALU_CYCLE_1) | instskip(NEXT) | instid1(VALU_DEP_1)
	v_cmp_ge_u64_e64 s21, s[40:41], s[20:21]
	s_and_b32 vcc_lo, exec_lo, s21
	s_cbranch_vccz .LBB10_103
; %bb.1:
	s_or_b64 s[4:5], s[36:37], s[38:39]
	s_mov_b32 s4, 0
	s_delay_alu instid0(SALU_CYCLE_1)
	s_cmp_lg_u64 s[4:5], 0
	s_cbranch_scc0 .LBB10_104
; %bb.2:
	v_cvt_f32_u32_e32 v1, s38
	v_cvt_f32_u32_e32 v2, s39
	s_sub_u32 s5, 0, s38
	s_subb_u32 s6, 0, s39
	s_delay_alu instid0(VALU_DEP_1) | instskip(NEXT) | instid1(VALU_DEP_1)
	v_fmamk_f32 v1, v2, 0x4f800000, v1
	v_rcp_f32_e32 v1, v1
	s_waitcnt_depctr 0xfff
	v_mul_f32_e32 v1, 0x5f7ffffc, v1
	s_delay_alu instid0(VALU_DEP_1) | instskip(NEXT) | instid1(VALU_DEP_1)
	v_mul_f32_e32 v2, 0x2f800000, v1
	v_trunc_f32_e32 v2, v2
	s_delay_alu instid0(VALU_DEP_1) | instskip(SKIP_1) | instid1(VALU_DEP_2)
	v_fmamk_f32 v1, v2, 0xcf800000, v1
	v_cvt_u32_f32_e32 v2, v2
	v_cvt_u32_f32_e32 v1, v1
	s_delay_alu instid0(VALU_DEP_2) | instskip(NEXT) | instid1(VALU_DEP_2)
	v_readfirstlane_b32 s2, v2
	v_readfirstlane_b32 s3, v1
	s_delay_alu instid0(VALU_DEP_2) | instskip(NEXT) | instid1(VALU_DEP_1)
	s_mul_i32 s7, s5, s2
	s_mul_hi_u32 s9, s5, s3
	s_mul_i32 s8, s6, s3
	s_add_i32 s7, s9, s7
	s_mul_i32 s10, s5, s3
	s_add_i32 s7, s7, s8
	s_mul_hi_u32 s9, s3, s10
	s_mul_hi_u32 s11, s2, s10
	s_mul_i32 s8, s2, s10
	s_mul_hi_u32 s10, s3, s7
	s_mul_i32 s3, s3, s7
	s_mul_hi_u32 s12, s2, s7
	s_add_u32 s3, s9, s3
	s_addc_u32 s9, 0, s10
	s_add_u32 s3, s3, s8
	s_mul_i32 s7, s2, s7
	s_addc_u32 s3, s9, s11
	s_addc_u32 s8, s12, 0
	s_add_u32 s3, s3, s7
	s_addc_u32 s7, 0, s8
	v_add_co_u32 v1, s3, v1, s3
	s_delay_alu instid0(VALU_DEP_1) | instskip(SKIP_1) | instid1(VALU_DEP_1)
	s_cmp_lg_u32 s3, 0
	s_addc_u32 s2, s2, s7
	v_readfirstlane_b32 s3, v1
	s_mul_i32 s7, s5, s2
	s_delay_alu instid0(VALU_DEP_1)
	s_mul_hi_u32 s8, s5, s3
	s_mul_i32 s6, s6, s3
	s_add_i32 s7, s8, s7
	s_mul_i32 s5, s5, s3
	s_add_i32 s7, s7, s6
	s_mul_hi_u32 s8, s2, s5
	s_mul_i32 s9, s2, s5
	s_mul_hi_u32 s5, s3, s5
	s_mul_hi_u32 s10, s3, s7
	s_mul_i32 s3, s3, s7
	s_mul_hi_u32 s6, s2, s7
	s_add_u32 s3, s5, s3
	s_addc_u32 s5, 0, s10
	s_add_u32 s3, s3, s9
	s_mul_i32 s7, s2, s7
	s_addc_u32 s3, s5, s8
	s_addc_u32 s5, s6, 0
	s_add_u32 s3, s3, s7
	s_addc_u32 s5, 0, s5
	v_add_co_u32 v1, s3, v1, s3
	s_delay_alu instid0(VALU_DEP_1) | instskip(SKIP_1) | instid1(VALU_DEP_1)
	s_cmp_lg_u32 s3, 0
	s_addc_u32 s2, s2, s5
	v_readfirstlane_b32 s3, v1
	s_mul_i32 s6, s36, s2
	s_mul_hi_u32 s5, s36, s2
	s_mul_hi_u32 s7, s37, s2
	s_mul_i32 s2, s37, s2
	s_mul_hi_u32 s8, s36, s3
	s_mul_hi_u32 s9, s37, s3
	s_mul_i32 s3, s37, s3
	s_add_u32 s6, s8, s6
	s_addc_u32 s5, 0, s5
	s_add_u32 s3, s6, s3
	s_addc_u32 s3, s5, s9
	s_addc_u32 s5, s7, 0
	s_add_u32 s3, s3, s2
	s_addc_u32 s5, 0, s5
	s_mul_hi_u32 s2, s38, s3
	s_mul_i32 s7, s38, s5
	s_mul_i32 s8, s38, s3
	s_add_i32 s2, s2, s7
	v_sub_co_u32 v1, s7, s36, s8
	s_mul_i32 s6, s39, s3
	s_delay_alu instid0(SALU_CYCLE_1) | instskip(NEXT) | instid1(VALU_DEP_1)
	s_add_i32 s2, s2, s6
	v_sub_co_u32 v2, s8, v1, s38
	s_sub_i32 s6, s37, s2
	s_cmp_lg_u32 s7, 0
	s_subb_u32 s6, s6, s39
	s_cmp_lg_u32 s8, 0
	v_cmp_le_u32_e32 vcc_lo, s38, v2
	s_subb_u32 s6, s6, 0
	s_delay_alu instid0(SALU_CYCLE_1)
	s_cmp_ge_u32 s6, s39
	v_cndmask_b32_e64 v2, 0, -1, vcc_lo
	s_cselect_b32 s8, -1, 0
	s_cmp_eq_u32 s6, s39
	s_cselect_b32 vcc_lo, -1, 0
	s_add_u32 s6, s3, 1
	v_cndmask_b32_e32 v2, s8, v2, vcc_lo
	s_addc_u32 s8, s5, 0
	s_add_u32 s9, s3, 2
	s_addc_u32 s10, s5, 0
	v_mov_b32_e32 v3, s9
	s_cmp_lg_u32 s7, 0
	v_cmp_le_u32_e32 vcc_lo, s38, v1
	s_subb_u32 s2, s37, s2
	s_delay_alu instid0(SALU_CYCLE_1)
	s_cmp_ge_u32 s2, s39
	v_cndmask_b32_e64 v1, 0, -1, vcc_lo
	s_cselect_b32 s7, -1, 0
	s_cmp_eq_u32 s2, s39
	v_cmp_ne_u32_e32 vcc_lo, 0, v2
	s_cselect_b32 s2, -1, 0
	v_mov_b32_e32 v2, s10
	v_cndmask_b32_e64 v1, s7, v1, s2
	v_cndmask_b32_e32 v3, s6, v3, vcc_lo
	s_delay_alu instid0(VALU_DEP_3) | instskip(NEXT) | instid1(VALU_DEP_3)
	v_cndmask_b32_e32 v2, s8, v2, vcc_lo
	v_cmp_ne_u32_e32 vcc_lo, 0, v1
	s_delay_alu instid0(VALU_DEP_2) | instskip(NEXT) | instid1(VALU_DEP_4)
	v_cndmask_b32_e32 v34, s5, v2, vcc_lo
	v_cndmask_b32_e32 v33, s3, v3, vcc_lo
	s_and_not1_b32 vcc_lo, exec_lo, s4
	s_cbranch_vccnz .LBB10_4
.LBB10_3:
	v_cvt_f32_u32_e32 v1, s38
	s_sub_i32 s3, 0, s38
	s_delay_alu instid0(VALU_DEP_1) | instskip(SKIP_2) | instid1(VALU_DEP_1)
	v_rcp_iflag_f32_e32 v1, v1
	s_waitcnt_depctr 0xfff
	v_mul_f32_e32 v1, 0x4f7ffffe, v1
	v_cvt_u32_f32_e32 v1, v1
	s_delay_alu instid0(VALU_DEP_1) | instskip(NEXT) | instid1(VALU_DEP_1)
	v_readfirstlane_b32 s2, v1
	s_mul_i32 s3, s3, s2
	s_delay_alu instid0(SALU_CYCLE_1) | instskip(NEXT) | instid1(SALU_CYCLE_1)
	s_mul_hi_u32 s3, s2, s3
	s_add_i32 s2, s2, s3
	s_delay_alu instid0(SALU_CYCLE_1) | instskip(NEXT) | instid1(SALU_CYCLE_1)
	s_mul_hi_u32 s2, s36, s2
	s_mul_i32 s3, s2, s38
	s_add_i32 s4, s2, 1
	s_sub_i32 s3, s36, s3
	s_delay_alu instid0(SALU_CYCLE_1)
	s_sub_i32 s5, s3, s38
	s_cmp_ge_u32 s3, s38
	s_cselect_b32 s2, s4, s2
	s_cselect_b32 s3, s5, s3
	s_add_i32 s4, s2, 1
	s_cmp_ge_u32 s3, s38
	s_mov_b32 s3, 0
	s_cselect_b32 s2, s4, s2
	s_delay_alu instid0(SALU_CYCLE_1)
	v_dual_mov_b32 v34, s3 :: v_dual_mov_b32 v33, s2
.LBB10_4:
	s_lshl_b32 s2, s20, 12
	s_delay_alu instid0(VALU_DEP_1) | instskip(SKIP_1) | instid1(SALU_CYCLE_1)
	v_dual_mov_b32 v1, v33 :: v_dual_mov_b32 v2, v34
	s_sub_i32 s49, s30, s2
	v_cmp_gt_u32_e64 s2, s49, v0
	s_delay_alu instid0(VALU_DEP_1)
	s_and_saveexec_b32 s4, s2
	s_cbranch_execz .LBB10_10
; %bb.5:
	v_add_co_u32 v3, s3, s36, v0
	s_delay_alu instid0(VALU_DEP_1) | instskip(SKIP_1) | instid1(VALU_DEP_2)
	v_add_co_ci_u32_e64 v4, null, s37, 0, s3
	v_mov_b32_e32 v1, 0
	v_or_b32_e32 v2, s39, v4
	s_delay_alu instid0(VALU_DEP_1) | instskip(SKIP_1) | instid1(SALU_CYCLE_1)
	v_cmp_ne_u64_e32 vcc_lo, 0, v[1:2]
                                        ; implicit-def: $vgpr1_vgpr2
	s_and_saveexec_b32 s3, vcc_lo
	s_xor_b32 s5, exec_lo, s3
	s_cbranch_execz .LBB10_7
; %bb.6:
	v_cvt_f32_u32_e32 v1, s38
	v_cvt_f32_u32_e32 v2, s39
	s_sub_u32 s3, 0, s38
	s_subb_u32 s6, 0, s39
	s_delay_alu instid0(VALU_DEP_1) | instskip(NEXT) | instid1(VALU_DEP_1)
	v_fmamk_f32 v1, v2, 0x4f800000, v1
	v_rcp_f32_e32 v1, v1
	s_waitcnt_depctr 0xfff
	v_mul_f32_e32 v1, 0x5f7ffffc, v1
	s_delay_alu instid0(VALU_DEP_1) | instskip(NEXT) | instid1(VALU_DEP_1)
	v_mul_f32_e32 v2, 0x2f800000, v1
	v_trunc_f32_e32 v2, v2
	s_delay_alu instid0(VALU_DEP_1) | instskip(SKIP_1) | instid1(VALU_DEP_2)
	v_fmamk_f32 v1, v2, 0xcf800000, v1
	v_cvt_u32_f32_e32 v2, v2
	v_cvt_u32_f32_e32 v1, v1
	s_delay_alu instid0(VALU_DEP_2) | instskip(NEXT) | instid1(VALU_DEP_2)
	v_mul_lo_u32 v5, s3, v2
	v_mul_hi_u32 v6, s3, v1
	v_mul_lo_u32 v7, s6, v1
	s_delay_alu instid0(VALU_DEP_2) | instskip(SKIP_1) | instid1(VALU_DEP_2)
	v_add_nc_u32_e32 v5, v6, v5
	v_mul_lo_u32 v6, s3, v1
	v_add_nc_u32_e32 v5, v5, v7
	s_delay_alu instid0(VALU_DEP_2) | instskip(NEXT) | instid1(VALU_DEP_2)
	v_mul_hi_u32 v7, v1, v6
	v_mul_lo_u32 v8, v1, v5
	v_mul_hi_u32 v9, v1, v5
	v_mul_hi_u32 v10, v2, v6
	v_mul_lo_u32 v6, v2, v6
	v_mul_hi_u32 v11, v2, v5
	v_mul_lo_u32 v5, v2, v5
	v_add_co_u32 v7, vcc_lo, v7, v8
	v_add_co_ci_u32_e32 v8, vcc_lo, 0, v9, vcc_lo
	s_delay_alu instid0(VALU_DEP_2) | instskip(NEXT) | instid1(VALU_DEP_2)
	v_add_co_u32 v6, vcc_lo, v7, v6
	v_add_co_ci_u32_e32 v6, vcc_lo, v8, v10, vcc_lo
	v_add_co_ci_u32_e32 v7, vcc_lo, 0, v11, vcc_lo
	s_delay_alu instid0(VALU_DEP_2) | instskip(NEXT) | instid1(VALU_DEP_2)
	v_add_co_u32 v5, vcc_lo, v6, v5
	v_add_co_ci_u32_e32 v6, vcc_lo, 0, v7, vcc_lo
	s_delay_alu instid0(VALU_DEP_2) | instskip(NEXT) | instid1(VALU_DEP_2)
	v_add_co_u32 v1, vcc_lo, v1, v5
	v_add_co_ci_u32_e32 v2, vcc_lo, v2, v6, vcc_lo
	s_delay_alu instid0(VALU_DEP_2) | instskip(SKIP_1) | instid1(VALU_DEP_3)
	v_mul_hi_u32 v5, s3, v1
	v_mul_lo_u32 v7, s6, v1
	v_mul_lo_u32 v6, s3, v2
	s_delay_alu instid0(VALU_DEP_1) | instskip(SKIP_1) | instid1(VALU_DEP_2)
	v_add_nc_u32_e32 v5, v5, v6
	v_mul_lo_u32 v6, s3, v1
	v_add_nc_u32_e32 v5, v5, v7
	s_delay_alu instid0(VALU_DEP_2) | instskip(NEXT) | instid1(VALU_DEP_2)
	v_mul_hi_u32 v7, v1, v6
	v_mul_lo_u32 v8, v1, v5
	v_mul_hi_u32 v9, v1, v5
	v_mul_hi_u32 v10, v2, v6
	v_mul_lo_u32 v6, v2, v6
	v_mul_hi_u32 v11, v2, v5
	v_mul_lo_u32 v5, v2, v5
	v_add_co_u32 v7, vcc_lo, v7, v8
	v_add_co_ci_u32_e32 v8, vcc_lo, 0, v9, vcc_lo
	s_delay_alu instid0(VALU_DEP_2) | instskip(NEXT) | instid1(VALU_DEP_2)
	v_add_co_u32 v6, vcc_lo, v7, v6
	v_add_co_ci_u32_e32 v6, vcc_lo, v8, v10, vcc_lo
	v_add_co_ci_u32_e32 v7, vcc_lo, 0, v11, vcc_lo
	s_delay_alu instid0(VALU_DEP_2) | instskip(NEXT) | instid1(VALU_DEP_2)
	v_add_co_u32 v5, vcc_lo, v6, v5
	v_add_co_ci_u32_e32 v6, vcc_lo, 0, v7, vcc_lo
	s_delay_alu instid0(VALU_DEP_2) | instskip(NEXT) | instid1(VALU_DEP_2)
	v_add_co_u32 v7, vcc_lo, v1, v5
	v_add_co_ci_u32_e32 v9, vcc_lo, v2, v6, vcc_lo
	s_delay_alu instid0(VALU_DEP_2) | instskip(SKIP_1) | instid1(VALU_DEP_3)
	v_mul_hi_u32 v10, v3, v7
	v_mad_u64_u32 v[5:6], null, v4, v7, 0
	v_mad_u64_u32 v[1:2], null, v3, v9, 0
	;; [unrolled: 1-line block ×3, first 2 shown]
	s_delay_alu instid0(VALU_DEP_2) | instskip(NEXT) | instid1(VALU_DEP_3)
	v_add_co_u32 v1, vcc_lo, v10, v1
	v_add_co_ci_u32_e32 v2, vcc_lo, 0, v2, vcc_lo
	s_delay_alu instid0(VALU_DEP_2) | instskip(NEXT) | instid1(VALU_DEP_2)
	v_add_co_u32 v1, vcc_lo, v1, v5
	v_add_co_ci_u32_e32 v1, vcc_lo, v2, v6, vcc_lo
	v_add_co_ci_u32_e32 v2, vcc_lo, 0, v8, vcc_lo
	s_delay_alu instid0(VALU_DEP_2) | instskip(NEXT) | instid1(VALU_DEP_2)
	v_add_co_u32 v5, vcc_lo, v1, v7
	v_add_co_ci_u32_e32 v6, vcc_lo, 0, v2, vcc_lo
	s_delay_alu instid0(VALU_DEP_2) | instskip(SKIP_1) | instid1(VALU_DEP_3)
	v_mul_lo_u32 v7, s39, v5
	v_mad_u64_u32 v[1:2], null, s38, v5, 0
	v_mul_lo_u32 v8, s38, v6
	s_delay_alu instid0(VALU_DEP_2) | instskip(NEXT) | instid1(VALU_DEP_2)
	v_sub_co_u32 v1, vcc_lo, v3, v1
	v_add3_u32 v2, v2, v8, v7
	s_delay_alu instid0(VALU_DEP_1) | instskip(NEXT) | instid1(VALU_DEP_1)
	v_sub_nc_u32_e32 v7, v4, v2
	v_subrev_co_ci_u32_e64 v3, s3, s39, v7, vcc_lo
	v_add_co_u32 v7, s3, v5, 2
	s_delay_alu instid0(VALU_DEP_1) | instskip(SKIP_3) | instid1(VALU_DEP_3)
	v_add_co_ci_u32_e64 v8, s3, 0, v6, s3
	v_sub_co_u32 v9, s3, v1, s38
	v_sub_co_ci_u32_e32 v2, vcc_lo, v4, v2, vcc_lo
	v_subrev_co_ci_u32_e64 v3, s3, 0, v3, s3
	v_cmp_le_u32_e32 vcc_lo, s38, v9
	s_delay_alu instid0(VALU_DEP_3) | instskip(SKIP_1) | instid1(VALU_DEP_4)
	v_cmp_eq_u32_e64 s3, s39, v2
	v_cndmask_b32_e64 v4, 0, -1, vcc_lo
	v_cmp_le_u32_e32 vcc_lo, s39, v3
	v_cndmask_b32_e64 v9, 0, -1, vcc_lo
	v_cmp_le_u32_e32 vcc_lo, s38, v1
	;; [unrolled: 2-line block ×3, first 2 shown]
	v_cndmask_b32_e64 v10, 0, -1, vcc_lo
	v_cmp_eq_u32_e32 vcc_lo, s39, v3
	s_delay_alu instid0(VALU_DEP_2) | instskip(SKIP_3) | instid1(VALU_DEP_3)
	v_cndmask_b32_e64 v1, v10, v1, s3
	v_cndmask_b32_e32 v3, v9, v4, vcc_lo
	v_add_co_u32 v4, vcc_lo, v5, 1
	v_add_co_ci_u32_e32 v9, vcc_lo, 0, v6, vcc_lo
	v_cmp_ne_u32_e32 vcc_lo, 0, v3
	s_delay_alu instid0(VALU_DEP_2) | instskip(SKIP_1) | instid1(VALU_DEP_2)
	v_dual_cndmask_b32 v2, v9, v8 :: v_dual_cndmask_b32 v3, v4, v7
	v_cmp_ne_u32_e32 vcc_lo, 0, v1
	v_dual_cndmask_b32 v2, v6, v2 :: v_dual_cndmask_b32 v1, v5, v3
                                        ; implicit-def: $vgpr3
.LBB10_7:
	s_and_not1_saveexec_b32 s3, s5
	s_cbranch_execz .LBB10_9
; %bb.8:
	v_cvt_f32_u32_e32 v1, s38
	s_sub_i32 s5, 0, s38
	s_delay_alu instid0(VALU_DEP_1) | instskip(SKIP_2) | instid1(VALU_DEP_1)
	v_rcp_iflag_f32_e32 v1, v1
	s_waitcnt_depctr 0xfff
	v_mul_f32_e32 v1, 0x4f7ffffe, v1
	v_cvt_u32_f32_e32 v1, v1
	s_delay_alu instid0(VALU_DEP_1) | instskip(NEXT) | instid1(VALU_DEP_1)
	v_mul_lo_u32 v2, s5, v1
	v_mul_hi_u32 v2, v1, v2
	s_delay_alu instid0(VALU_DEP_1) | instskip(NEXT) | instid1(VALU_DEP_1)
	v_add_nc_u32_e32 v1, v1, v2
	v_mul_hi_u32 v1, v3, v1
	s_delay_alu instid0(VALU_DEP_1) | instskip(NEXT) | instid1(VALU_DEP_1)
	v_mul_lo_u32 v2, v1, s38
	v_sub_nc_u32_e32 v2, v3, v2
	v_add_nc_u32_e32 v3, 1, v1
	s_delay_alu instid0(VALU_DEP_2) | instskip(SKIP_1) | instid1(VALU_DEP_2)
	v_subrev_nc_u32_e32 v4, s38, v2
	v_cmp_le_u32_e32 vcc_lo, s38, v2
	v_dual_cndmask_b32 v2, v2, v4 :: v_dual_cndmask_b32 v1, v1, v3
	s_delay_alu instid0(VALU_DEP_1) | instskip(NEXT) | instid1(VALU_DEP_2)
	v_cmp_le_u32_e32 vcc_lo, s38, v2
	v_dual_mov_b32 v2, 0 :: v_dual_add_nc_u32 v3, 1, v1
	s_delay_alu instid0(VALU_DEP_1)
	v_cndmask_b32_e32 v1, v1, v3, vcc_lo
.LBB10_9:
	s_or_b32 exec_lo, exec_lo, s3
.LBB10_10:
	s_delay_alu instid0(SALU_CYCLE_1) | instskip(SKIP_2) | instid1(VALU_DEP_2)
	s_or_b32 exec_lo, exec_lo, s4
	v_or_b32_e32 v35, 0x100, v0
	v_dual_mov_b32 v3, v33 :: v_dual_mov_b32 v4, v34
	v_cmp_gt_u32_e64 s3, s49, v35
	s_delay_alu instid0(VALU_DEP_1)
	s_and_saveexec_b32 s5, s3
	s_cbranch_execz .LBB10_16
; %bb.11:
	v_add_co_u32 v5, s4, s36, v35
	s_delay_alu instid0(VALU_DEP_1) | instskip(SKIP_1) | instid1(VALU_DEP_2)
	v_add_co_ci_u32_e64 v6, null, s37, 0, s4
	v_mov_b32_e32 v3, 0
	v_or_b32_e32 v4, s39, v6
	s_delay_alu instid0(VALU_DEP_1) | instskip(SKIP_1) | instid1(SALU_CYCLE_1)
	v_cmp_ne_u64_e32 vcc_lo, 0, v[3:4]
                                        ; implicit-def: $vgpr3_vgpr4
	s_and_saveexec_b32 s4, vcc_lo
	s_xor_b32 s6, exec_lo, s4
	s_cbranch_execz .LBB10_13
; %bb.12:
	v_cvt_f32_u32_e32 v3, s38
	v_cvt_f32_u32_e32 v4, s39
	s_sub_u32 s4, 0, s38
	s_subb_u32 s7, 0, s39
	s_delay_alu instid0(VALU_DEP_1) | instskip(NEXT) | instid1(VALU_DEP_1)
	v_fmamk_f32 v3, v4, 0x4f800000, v3
	v_rcp_f32_e32 v3, v3
	s_waitcnt_depctr 0xfff
	v_mul_f32_e32 v3, 0x5f7ffffc, v3
	s_delay_alu instid0(VALU_DEP_1) | instskip(NEXT) | instid1(VALU_DEP_1)
	v_mul_f32_e32 v4, 0x2f800000, v3
	v_trunc_f32_e32 v4, v4
	s_delay_alu instid0(VALU_DEP_1) | instskip(SKIP_1) | instid1(VALU_DEP_2)
	v_fmamk_f32 v3, v4, 0xcf800000, v3
	v_cvt_u32_f32_e32 v4, v4
	v_cvt_u32_f32_e32 v3, v3
	s_delay_alu instid0(VALU_DEP_2) | instskip(NEXT) | instid1(VALU_DEP_2)
	v_mul_lo_u32 v7, s4, v4
	v_mul_hi_u32 v8, s4, v3
	v_mul_lo_u32 v9, s7, v3
	s_delay_alu instid0(VALU_DEP_2) | instskip(SKIP_1) | instid1(VALU_DEP_2)
	v_add_nc_u32_e32 v7, v8, v7
	v_mul_lo_u32 v8, s4, v3
	v_add_nc_u32_e32 v7, v7, v9
	s_delay_alu instid0(VALU_DEP_2) | instskip(NEXT) | instid1(VALU_DEP_2)
	v_mul_hi_u32 v9, v3, v8
	v_mul_lo_u32 v10, v3, v7
	v_mul_hi_u32 v11, v3, v7
	v_mul_hi_u32 v12, v4, v8
	v_mul_lo_u32 v8, v4, v8
	v_mul_hi_u32 v13, v4, v7
	v_mul_lo_u32 v7, v4, v7
	v_add_co_u32 v9, vcc_lo, v9, v10
	v_add_co_ci_u32_e32 v10, vcc_lo, 0, v11, vcc_lo
	s_delay_alu instid0(VALU_DEP_2) | instskip(NEXT) | instid1(VALU_DEP_2)
	v_add_co_u32 v8, vcc_lo, v9, v8
	v_add_co_ci_u32_e32 v8, vcc_lo, v10, v12, vcc_lo
	v_add_co_ci_u32_e32 v9, vcc_lo, 0, v13, vcc_lo
	s_delay_alu instid0(VALU_DEP_2) | instskip(NEXT) | instid1(VALU_DEP_2)
	v_add_co_u32 v7, vcc_lo, v8, v7
	v_add_co_ci_u32_e32 v8, vcc_lo, 0, v9, vcc_lo
	s_delay_alu instid0(VALU_DEP_2) | instskip(NEXT) | instid1(VALU_DEP_2)
	v_add_co_u32 v3, vcc_lo, v3, v7
	v_add_co_ci_u32_e32 v4, vcc_lo, v4, v8, vcc_lo
	s_delay_alu instid0(VALU_DEP_2) | instskip(SKIP_1) | instid1(VALU_DEP_3)
	v_mul_hi_u32 v7, s4, v3
	v_mul_lo_u32 v9, s7, v3
	v_mul_lo_u32 v8, s4, v4
	s_delay_alu instid0(VALU_DEP_1) | instskip(SKIP_1) | instid1(VALU_DEP_2)
	v_add_nc_u32_e32 v7, v7, v8
	v_mul_lo_u32 v8, s4, v3
	v_add_nc_u32_e32 v7, v7, v9
	s_delay_alu instid0(VALU_DEP_2) | instskip(NEXT) | instid1(VALU_DEP_2)
	v_mul_hi_u32 v9, v3, v8
	v_mul_lo_u32 v10, v3, v7
	v_mul_hi_u32 v11, v3, v7
	v_mul_hi_u32 v12, v4, v8
	v_mul_lo_u32 v8, v4, v8
	v_mul_hi_u32 v13, v4, v7
	v_mul_lo_u32 v7, v4, v7
	v_add_co_u32 v9, vcc_lo, v9, v10
	v_add_co_ci_u32_e32 v10, vcc_lo, 0, v11, vcc_lo
	s_delay_alu instid0(VALU_DEP_2) | instskip(NEXT) | instid1(VALU_DEP_2)
	v_add_co_u32 v8, vcc_lo, v9, v8
	v_add_co_ci_u32_e32 v8, vcc_lo, v10, v12, vcc_lo
	v_add_co_ci_u32_e32 v9, vcc_lo, 0, v13, vcc_lo
	s_delay_alu instid0(VALU_DEP_2) | instskip(NEXT) | instid1(VALU_DEP_2)
	v_add_co_u32 v7, vcc_lo, v8, v7
	v_add_co_ci_u32_e32 v8, vcc_lo, 0, v9, vcc_lo
	s_delay_alu instid0(VALU_DEP_2) | instskip(NEXT) | instid1(VALU_DEP_2)
	v_add_co_u32 v9, vcc_lo, v3, v7
	v_add_co_ci_u32_e32 v11, vcc_lo, v4, v8, vcc_lo
	s_delay_alu instid0(VALU_DEP_2) | instskip(SKIP_1) | instid1(VALU_DEP_3)
	v_mul_hi_u32 v12, v5, v9
	v_mad_u64_u32 v[7:8], null, v6, v9, 0
	v_mad_u64_u32 v[3:4], null, v5, v11, 0
	v_mad_u64_u32 v[9:10], null, v6, v11, 0
	s_delay_alu instid0(VALU_DEP_2) | instskip(NEXT) | instid1(VALU_DEP_3)
	v_add_co_u32 v3, vcc_lo, v12, v3
	v_add_co_ci_u32_e32 v4, vcc_lo, 0, v4, vcc_lo
	s_delay_alu instid0(VALU_DEP_2) | instskip(NEXT) | instid1(VALU_DEP_2)
	v_add_co_u32 v3, vcc_lo, v3, v7
	v_add_co_ci_u32_e32 v3, vcc_lo, v4, v8, vcc_lo
	v_add_co_ci_u32_e32 v4, vcc_lo, 0, v10, vcc_lo
	s_delay_alu instid0(VALU_DEP_2) | instskip(NEXT) | instid1(VALU_DEP_2)
	v_add_co_u32 v7, vcc_lo, v3, v9
	v_add_co_ci_u32_e32 v8, vcc_lo, 0, v4, vcc_lo
	s_delay_alu instid0(VALU_DEP_2) | instskip(SKIP_1) | instid1(VALU_DEP_3)
	v_mul_lo_u32 v9, s39, v7
	v_mad_u64_u32 v[3:4], null, s38, v7, 0
	v_mul_lo_u32 v10, s38, v8
	s_delay_alu instid0(VALU_DEP_2) | instskip(NEXT) | instid1(VALU_DEP_2)
	v_sub_co_u32 v3, vcc_lo, v5, v3
	v_add3_u32 v4, v4, v10, v9
	s_delay_alu instid0(VALU_DEP_1) | instskip(NEXT) | instid1(VALU_DEP_1)
	v_sub_nc_u32_e32 v9, v6, v4
	v_subrev_co_ci_u32_e64 v5, s4, s39, v9, vcc_lo
	v_add_co_u32 v9, s4, v7, 2
	s_delay_alu instid0(VALU_DEP_1) | instskip(SKIP_3) | instid1(VALU_DEP_3)
	v_add_co_ci_u32_e64 v10, s4, 0, v8, s4
	v_sub_co_u32 v11, s4, v3, s38
	v_sub_co_ci_u32_e32 v4, vcc_lo, v6, v4, vcc_lo
	v_subrev_co_ci_u32_e64 v5, s4, 0, v5, s4
	v_cmp_le_u32_e32 vcc_lo, s38, v11
	s_delay_alu instid0(VALU_DEP_3) | instskip(SKIP_1) | instid1(VALU_DEP_4)
	v_cmp_eq_u32_e64 s4, s39, v4
	v_cndmask_b32_e64 v6, 0, -1, vcc_lo
	v_cmp_le_u32_e32 vcc_lo, s39, v5
	v_cndmask_b32_e64 v11, 0, -1, vcc_lo
	v_cmp_le_u32_e32 vcc_lo, s38, v3
	;; [unrolled: 2-line block ×3, first 2 shown]
	v_cndmask_b32_e64 v12, 0, -1, vcc_lo
	v_cmp_eq_u32_e32 vcc_lo, s39, v5
	s_delay_alu instid0(VALU_DEP_2) | instskip(SKIP_3) | instid1(VALU_DEP_3)
	v_cndmask_b32_e64 v3, v12, v3, s4
	v_cndmask_b32_e32 v5, v11, v6, vcc_lo
	v_add_co_u32 v6, vcc_lo, v7, 1
	v_add_co_ci_u32_e32 v11, vcc_lo, 0, v8, vcc_lo
	v_cmp_ne_u32_e32 vcc_lo, 0, v5
	s_delay_alu instid0(VALU_DEP_2) | instskip(SKIP_1) | instid1(VALU_DEP_2)
	v_dual_cndmask_b32 v4, v11, v10 :: v_dual_cndmask_b32 v5, v6, v9
	v_cmp_ne_u32_e32 vcc_lo, 0, v3
	v_dual_cndmask_b32 v4, v8, v4 :: v_dual_cndmask_b32 v3, v7, v5
                                        ; implicit-def: $vgpr5
.LBB10_13:
	s_and_not1_saveexec_b32 s4, s6
	s_cbranch_execz .LBB10_15
; %bb.14:
	v_cvt_f32_u32_e32 v3, s38
	s_sub_i32 s6, 0, s38
	s_delay_alu instid0(VALU_DEP_1) | instskip(SKIP_2) | instid1(VALU_DEP_1)
	v_rcp_iflag_f32_e32 v3, v3
	s_waitcnt_depctr 0xfff
	v_mul_f32_e32 v3, 0x4f7ffffe, v3
	v_cvt_u32_f32_e32 v3, v3
	s_delay_alu instid0(VALU_DEP_1) | instskip(NEXT) | instid1(VALU_DEP_1)
	v_mul_lo_u32 v4, s6, v3
	v_mul_hi_u32 v4, v3, v4
	s_delay_alu instid0(VALU_DEP_1) | instskip(NEXT) | instid1(VALU_DEP_1)
	v_add_nc_u32_e32 v3, v3, v4
	v_mul_hi_u32 v3, v5, v3
	s_delay_alu instid0(VALU_DEP_1) | instskip(NEXT) | instid1(VALU_DEP_1)
	v_mul_lo_u32 v4, v3, s38
	v_sub_nc_u32_e32 v4, v5, v4
	v_add_nc_u32_e32 v5, 1, v3
	s_delay_alu instid0(VALU_DEP_2) | instskip(SKIP_1) | instid1(VALU_DEP_2)
	v_subrev_nc_u32_e32 v6, s38, v4
	v_cmp_le_u32_e32 vcc_lo, s38, v4
	v_dual_cndmask_b32 v4, v4, v6 :: v_dual_cndmask_b32 v3, v3, v5
	s_delay_alu instid0(VALU_DEP_1) | instskip(NEXT) | instid1(VALU_DEP_2)
	v_cmp_le_u32_e32 vcc_lo, s38, v4
	v_dual_mov_b32 v4, 0 :: v_dual_add_nc_u32 v5, 1, v3
	s_delay_alu instid0(VALU_DEP_1)
	v_cndmask_b32_e32 v3, v3, v5, vcc_lo
.LBB10_15:
	s_or_b32 exec_lo, exec_lo, s4
.LBB10_16:
	s_delay_alu instid0(SALU_CYCLE_1) | instskip(SKIP_2) | instid1(VALU_DEP_2)
	s_or_b32 exec_lo, exec_lo, s5
	v_or_b32_e32 v37, 0x200, v0
	v_dual_mov_b32 v5, v33 :: v_dual_mov_b32 v6, v34
	v_cmp_gt_u32_e64 s4, s49, v37
	s_delay_alu instid0(VALU_DEP_1)
	s_and_saveexec_b32 s6, s4
	s_cbranch_execz .LBB10_22
; %bb.17:
	v_add_co_u32 v7, s5, s36, v37
	s_delay_alu instid0(VALU_DEP_1) | instskip(SKIP_1) | instid1(VALU_DEP_2)
	v_add_co_ci_u32_e64 v8, null, s37, 0, s5
	v_mov_b32_e32 v5, 0
	v_or_b32_e32 v6, s39, v8
	s_delay_alu instid0(VALU_DEP_1) | instskip(SKIP_1) | instid1(SALU_CYCLE_1)
	v_cmp_ne_u64_e32 vcc_lo, 0, v[5:6]
                                        ; implicit-def: $vgpr5_vgpr6
	s_and_saveexec_b32 s5, vcc_lo
	s_xor_b32 s7, exec_lo, s5
	s_cbranch_execz .LBB10_19
; %bb.18:
	v_cvt_f32_u32_e32 v5, s38
	v_cvt_f32_u32_e32 v6, s39
	s_sub_u32 s5, 0, s38
	s_subb_u32 s8, 0, s39
	s_delay_alu instid0(VALU_DEP_1) | instskip(NEXT) | instid1(VALU_DEP_1)
	v_fmamk_f32 v5, v6, 0x4f800000, v5
	v_rcp_f32_e32 v5, v5
	s_waitcnt_depctr 0xfff
	v_mul_f32_e32 v5, 0x5f7ffffc, v5
	s_delay_alu instid0(VALU_DEP_1) | instskip(NEXT) | instid1(VALU_DEP_1)
	v_mul_f32_e32 v6, 0x2f800000, v5
	v_trunc_f32_e32 v6, v6
	s_delay_alu instid0(VALU_DEP_1) | instskip(SKIP_1) | instid1(VALU_DEP_2)
	v_fmamk_f32 v5, v6, 0xcf800000, v5
	v_cvt_u32_f32_e32 v6, v6
	v_cvt_u32_f32_e32 v5, v5
	s_delay_alu instid0(VALU_DEP_2) | instskip(NEXT) | instid1(VALU_DEP_2)
	v_mul_lo_u32 v9, s5, v6
	v_mul_hi_u32 v10, s5, v5
	v_mul_lo_u32 v11, s8, v5
	s_delay_alu instid0(VALU_DEP_2) | instskip(SKIP_1) | instid1(VALU_DEP_2)
	v_add_nc_u32_e32 v9, v10, v9
	v_mul_lo_u32 v10, s5, v5
	v_add_nc_u32_e32 v9, v9, v11
	s_delay_alu instid0(VALU_DEP_2) | instskip(NEXT) | instid1(VALU_DEP_2)
	v_mul_hi_u32 v11, v5, v10
	v_mul_lo_u32 v12, v5, v9
	v_mul_hi_u32 v13, v5, v9
	v_mul_hi_u32 v14, v6, v10
	v_mul_lo_u32 v10, v6, v10
	v_mul_hi_u32 v15, v6, v9
	v_mul_lo_u32 v9, v6, v9
	v_add_co_u32 v11, vcc_lo, v11, v12
	v_add_co_ci_u32_e32 v12, vcc_lo, 0, v13, vcc_lo
	s_delay_alu instid0(VALU_DEP_2) | instskip(NEXT) | instid1(VALU_DEP_2)
	v_add_co_u32 v10, vcc_lo, v11, v10
	v_add_co_ci_u32_e32 v10, vcc_lo, v12, v14, vcc_lo
	v_add_co_ci_u32_e32 v11, vcc_lo, 0, v15, vcc_lo
	s_delay_alu instid0(VALU_DEP_2) | instskip(NEXT) | instid1(VALU_DEP_2)
	v_add_co_u32 v9, vcc_lo, v10, v9
	v_add_co_ci_u32_e32 v10, vcc_lo, 0, v11, vcc_lo
	s_delay_alu instid0(VALU_DEP_2) | instskip(NEXT) | instid1(VALU_DEP_2)
	v_add_co_u32 v5, vcc_lo, v5, v9
	v_add_co_ci_u32_e32 v6, vcc_lo, v6, v10, vcc_lo
	s_delay_alu instid0(VALU_DEP_2) | instskip(SKIP_1) | instid1(VALU_DEP_3)
	v_mul_hi_u32 v9, s5, v5
	v_mul_lo_u32 v11, s8, v5
	v_mul_lo_u32 v10, s5, v6
	s_delay_alu instid0(VALU_DEP_1) | instskip(SKIP_1) | instid1(VALU_DEP_2)
	v_add_nc_u32_e32 v9, v9, v10
	v_mul_lo_u32 v10, s5, v5
	v_add_nc_u32_e32 v9, v9, v11
	s_delay_alu instid0(VALU_DEP_2) | instskip(NEXT) | instid1(VALU_DEP_2)
	v_mul_hi_u32 v11, v5, v10
	v_mul_lo_u32 v12, v5, v9
	v_mul_hi_u32 v13, v5, v9
	v_mul_hi_u32 v14, v6, v10
	v_mul_lo_u32 v10, v6, v10
	v_mul_hi_u32 v15, v6, v9
	v_mul_lo_u32 v9, v6, v9
	v_add_co_u32 v11, vcc_lo, v11, v12
	v_add_co_ci_u32_e32 v12, vcc_lo, 0, v13, vcc_lo
	s_delay_alu instid0(VALU_DEP_2) | instskip(NEXT) | instid1(VALU_DEP_2)
	v_add_co_u32 v10, vcc_lo, v11, v10
	v_add_co_ci_u32_e32 v10, vcc_lo, v12, v14, vcc_lo
	v_add_co_ci_u32_e32 v11, vcc_lo, 0, v15, vcc_lo
	s_delay_alu instid0(VALU_DEP_2) | instskip(NEXT) | instid1(VALU_DEP_2)
	v_add_co_u32 v9, vcc_lo, v10, v9
	v_add_co_ci_u32_e32 v10, vcc_lo, 0, v11, vcc_lo
	s_delay_alu instid0(VALU_DEP_2) | instskip(NEXT) | instid1(VALU_DEP_2)
	v_add_co_u32 v11, vcc_lo, v5, v9
	v_add_co_ci_u32_e32 v13, vcc_lo, v6, v10, vcc_lo
	s_delay_alu instid0(VALU_DEP_2) | instskip(SKIP_1) | instid1(VALU_DEP_3)
	v_mul_hi_u32 v14, v7, v11
	v_mad_u64_u32 v[9:10], null, v8, v11, 0
	v_mad_u64_u32 v[5:6], null, v7, v13, 0
	;; [unrolled: 1-line block ×3, first 2 shown]
	s_delay_alu instid0(VALU_DEP_2) | instskip(NEXT) | instid1(VALU_DEP_3)
	v_add_co_u32 v5, vcc_lo, v14, v5
	v_add_co_ci_u32_e32 v6, vcc_lo, 0, v6, vcc_lo
	s_delay_alu instid0(VALU_DEP_2) | instskip(NEXT) | instid1(VALU_DEP_2)
	v_add_co_u32 v5, vcc_lo, v5, v9
	v_add_co_ci_u32_e32 v5, vcc_lo, v6, v10, vcc_lo
	v_add_co_ci_u32_e32 v6, vcc_lo, 0, v12, vcc_lo
	s_delay_alu instid0(VALU_DEP_2) | instskip(NEXT) | instid1(VALU_DEP_2)
	v_add_co_u32 v9, vcc_lo, v5, v11
	v_add_co_ci_u32_e32 v10, vcc_lo, 0, v6, vcc_lo
	s_delay_alu instid0(VALU_DEP_2) | instskip(SKIP_1) | instid1(VALU_DEP_3)
	v_mul_lo_u32 v11, s39, v9
	v_mad_u64_u32 v[5:6], null, s38, v9, 0
	v_mul_lo_u32 v12, s38, v10
	s_delay_alu instid0(VALU_DEP_2) | instskip(NEXT) | instid1(VALU_DEP_2)
	v_sub_co_u32 v5, vcc_lo, v7, v5
	v_add3_u32 v6, v6, v12, v11
	s_delay_alu instid0(VALU_DEP_1) | instskip(NEXT) | instid1(VALU_DEP_1)
	v_sub_nc_u32_e32 v11, v8, v6
	v_subrev_co_ci_u32_e64 v7, s5, s39, v11, vcc_lo
	v_add_co_u32 v11, s5, v9, 2
	s_delay_alu instid0(VALU_DEP_1) | instskip(SKIP_3) | instid1(VALU_DEP_3)
	v_add_co_ci_u32_e64 v12, s5, 0, v10, s5
	v_sub_co_u32 v13, s5, v5, s38
	v_sub_co_ci_u32_e32 v6, vcc_lo, v8, v6, vcc_lo
	v_subrev_co_ci_u32_e64 v7, s5, 0, v7, s5
	v_cmp_le_u32_e32 vcc_lo, s38, v13
	s_delay_alu instid0(VALU_DEP_3) | instskip(SKIP_1) | instid1(VALU_DEP_4)
	v_cmp_eq_u32_e64 s5, s39, v6
	v_cndmask_b32_e64 v8, 0, -1, vcc_lo
	v_cmp_le_u32_e32 vcc_lo, s39, v7
	v_cndmask_b32_e64 v13, 0, -1, vcc_lo
	v_cmp_le_u32_e32 vcc_lo, s38, v5
	;; [unrolled: 2-line block ×3, first 2 shown]
	v_cndmask_b32_e64 v14, 0, -1, vcc_lo
	v_cmp_eq_u32_e32 vcc_lo, s39, v7
	s_delay_alu instid0(VALU_DEP_2) | instskip(SKIP_3) | instid1(VALU_DEP_3)
	v_cndmask_b32_e64 v5, v14, v5, s5
	v_cndmask_b32_e32 v7, v13, v8, vcc_lo
	v_add_co_u32 v8, vcc_lo, v9, 1
	v_add_co_ci_u32_e32 v13, vcc_lo, 0, v10, vcc_lo
	v_cmp_ne_u32_e32 vcc_lo, 0, v7
	s_delay_alu instid0(VALU_DEP_2) | instskip(SKIP_1) | instid1(VALU_DEP_2)
	v_dual_cndmask_b32 v6, v13, v12 :: v_dual_cndmask_b32 v7, v8, v11
	v_cmp_ne_u32_e32 vcc_lo, 0, v5
	v_dual_cndmask_b32 v6, v10, v6 :: v_dual_cndmask_b32 v5, v9, v7
                                        ; implicit-def: $vgpr7
.LBB10_19:
	s_and_not1_saveexec_b32 s5, s7
	s_cbranch_execz .LBB10_21
; %bb.20:
	v_cvt_f32_u32_e32 v5, s38
	s_sub_i32 s7, 0, s38
	s_delay_alu instid0(VALU_DEP_1) | instskip(SKIP_2) | instid1(VALU_DEP_1)
	v_rcp_iflag_f32_e32 v5, v5
	s_waitcnt_depctr 0xfff
	v_mul_f32_e32 v5, 0x4f7ffffe, v5
	v_cvt_u32_f32_e32 v5, v5
	s_delay_alu instid0(VALU_DEP_1) | instskip(NEXT) | instid1(VALU_DEP_1)
	v_mul_lo_u32 v6, s7, v5
	v_mul_hi_u32 v6, v5, v6
	s_delay_alu instid0(VALU_DEP_1) | instskip(NEXT) | instid1(VALU_DEP_1)
	v_add_nc_u32_e32 v5, v5, v6
	v_mul_hi_u32 v5, v7, v5
	s_delay_alu instid0(VALU_DEP_1) | instskip(NEXT) | instid1(VALU_DEP_1)
	v_mul_lo_u32 v6, v5, s38
	v_sub_nc_u32_e32 v6, v7, v6
	v_add_nc_u32_e32 v7, 1, v5
	s_delay_alu instid0(VALU_DEP_2) | instskip(SKIP_1) | instid1(VALU_DEP_2)
	v_subrev_nc_u32_e32 v8, s38, v6
	v_cmp_le_u32_e32 vcc_lo, s38, v6
	v_dual_cndmask_b32 v6, v6, v8 :: v_dual_cndmask_b32 v5, v5, v7
	s_delay_alu instid0(VALU_DEP_1) | instskip(NEXT) | instid1(VALU_DEP_2)
	v_cmp_le_u32_e32 vcc_lo, s38, v6
	v_dual_mov_b32 v6, 0 :: v_dual_add_nc_u32 v7, 1, v5
	s_delay_alu instid0(VALU_DEP_1)
	v_cndmask_b32_e32 v5, v5, v7, vcc_lo
.LBB10_21:
	s_or_b32 exec_lo, exec_lo, s5
.LBB10_22:
	s_delay_alu instid0(SALU_CYCLE_1) | instskip(SKIP_2) | instid1(VALU_DEP_2)
	s_or_b32 exec_lo, exec_lo, s6
	v_or_b32_e32 v39, 0x300, v0
	v_dual_mov_b32 v7, v33 :: v_dual_mov_b32 v8, v34
	v_cmp_gt_u32_e64 s5, s49, v39
	s_delay_alu instid0(VALU_DEP_1)
	s_and_saveexec_b32 s7, s5
	s_cbranch_execz .LBB10_28
; %bb.23:
	v_add_co_u32 v9, s6, s36, v39
	s_delay_alu instid0(VALU_DEP_1) | instskip(SKIP_1) | instid1(VALU_DEP_2)
	v_add_co_ci_u32_e64 v10, null, s37, 0, s6
	v_mov_b32_e32 v7, 0
	v_or_b32_e32 v8, s39, v10
	s_delay_alu instid0(VALU_DEP_1) | instskip(SKIP_1) | instid1(SALU_CYCLE_1)
	v_cmp_ne_u64_e32 vcc_lo, 0, v[7:8]
                                        ; implicit-def: $vgpr7_vgpr8
	s_and_saveexec_b32 s6, vcc_lo
	s_xor_b32 s8, exec_lo, s6
	s_cbranch_execz .LBB10_25
; %bb.24:
	v_cvt_f32_u32_e32 v7, s38
	v_cvt_f32_u32_e32 v8, s39
	s_sub_u32 s6, 0, s38
	s_subb_u32 s9, 0, s39
	s_delay_alu instid0(VALU_DEP_1) | instskip(NEXT) | instid1(VALU_DEP_1)
	v_fmamk_f32 v7, v8, 0x4f800000, v7
	v_rcp_f32_e32 v7, v7
	s_waitcnt_depctr 0xfff
	v_mul_f32_e32 v7, 0x5f7ffffc, v7
	s_delay_alu instid0(VALU_DEP_1) | instskip(NEXT) | instid1(VALU_DEP_1)
	v_mul_f32_e32 v8, 0x2f800000, v7
	v_trunc_f32_e32 v8, v8
	s_delay_alu instid0(VALU_DEP_1) | instskip(SKIP_1) | instid1(VALU_DEP_2)
	v_fmamk_f32 v7, v8, 0xcf800000, v7
	v_cvt_u32_f32_e32 v8, v8
	v_cvt_u32_f32_e32 v7, v7
	s_delay_alu instid0(VALU_DEP_2) | instskip(NEXT) | instid1(VALU_DEP_2)
	v_mul_lo_u32 v11, s6, v8
	v_mul_hi_u32 v12, s6, v7
	v_mul_lo_u32 v13, s9, v7
	s_delay_alu instid0(VALU_DEP_2) | instskip(SKIP_1) | instid1(VALU_DEP_2)
	v_add_nc_u32_e32 v11, v12, v11
	v_mul_lo_u32 v12, s6, v7
	v_add_nc_u32_e32 v11, v11, v13
	s_delay_alu instid0(VALU_DEP_2) | instskip(NEXT) | instid1(VALU_DEP_2)
	v_mul_hi_u32 v13, v7, v12
	v_mul_lo_u32 v14, v7, v11
	v_mul_hi_u32 v15, v7, v11
	v_mul_hi_u32 v16, v8, v12
	v_mul_lo_u32 v12, v8, v12
	v_mul_hi_u32 v17, v8, v11
	v_mul_lo_u32 v11, v8, v11
	v_add_co_u32 v13, vcc_lo, v13, v14
	v_add_co_ci_u32_e32 v14, vcc_lo, 0, v15, vcc_lo
	s_delay_alu instid0(VALU_DEP_2) | instskip(NEXT) | instid1(VALU_DEP_2)
	v_add_co_u32 v12, vcc_lo, v13, v12
	v_add_co_ci_u32_e32 v12, vcc_lo, v14, v16, vcc_lo
	v_add_co_ci_u32_e32 v13, vcc_lo, 0, v17, vcc_lo
	s_delay_alu instid0(VALU_DEP_2) | instskip(NEXT) | instid1(VALU_DEP_2)
	v_add_co_u32 v11, vcc_lo, v12, v11
	v_add_co_ci_u32_e32 v12, vcc_lo, 0, v13, vcc_lo
	s_delay_alu instid0(VALU_DEP_2) | instskip(NEXT) | instid1(VALU_DEP_2)
	v_add_co_u32 v7, vcc_lo, v7, v11
	v_add_co_ci_u32_e32 v8, vcc_lo, v8, v12, vcc_lo
	s_delay_alu instid0(VALU_DEP_2) | instskip(SKIP_1) | instid1(VALU_DEP_3)
	v_mul_hi_u32 v11, s6, v7
	v_mul_lo_u32 v13, s9, v7
	v_mul_lo_u32 v12, s6, v8
	s_delay_alu instid0(VALU_DEP_1) | instskip(SKIP_1) | instid1(VALU_DEP_2)
	v_add_nc_u32_e32 v11, v11, v12
	v_mul_lo_u32 v12, s6, v7
	v_add_nc_u32_e32 v11, v11, v13
	s_delay_alu instid0(VALU_DEP_2) | instskip(NEXT) | instid1(VALU_DEP_2)
	v_mul_hi_u32 v13, v7, v12
	v_mul_lo_u32 v14, v7, v11
	v_mul_hi_u32 v15, v7, v11
	v_mul_hi_u32 v16, v8, v12
	v_mul_lo_u32 v12, v8, v12
	v_mul_hi_u32 v17, v8, v11
	v_mul_lo_u32 v11, v8, v11
	v_add_co_u32 v13, vcc_lo, v13, v14
	v_add_co_ci_u32_e32 v14, vcc_lo, 0, v15, vcc_lo
	s_delay_alu instid0(VALU_DEP_2) | instskip(NEXT) | instid1(VALU_DEP_2)
	v_add_co_u32 v12, vcc_lo, v13, v12
	v_add_co_ci_u32_e32 v12, vcc_lo, v14, v16, vcc_lo
	v_add_co_ci_u32_e32 v13, vcc_lo, 0, v17, vcc_lo
	s_delay_alu instid0(VALU_DEP_2) | instskip(NEXT) | instid1(VALU_DEP_2)
	v_add_co_u32 v11, vcc_lo, v12, v11
	v_add_co_ci_u32_e32 v12, vcc_lo, 0, v13, vcc_lo
	s_delay_alu instid0(VALU_DEP_2) | instskip(NEXT) | instid1(VALU_DEP_2)
	v_add_co_u32 v13, vcc_lo, v7, v11
	v_add_co_ci_u32_e32 v15, vcc_lo, v8, v12, vcc_lo
	s_delay_alu instid0(VALU_DEP_2) | instskip(SKIP_1) | instid1(VALU_DEP_3)
	v_mul_hi_u32 v16, v9, v13
	v_mad_u64_u32 v[11:12], null, v10, v13, 0
	v_mad_u64_u32 v[7:8], null, v9, v15, 0
	;; [unrolled: 1-line block ×3, first 2 shown]
	s_delay_alu instid0(VALU_DEP_2) | instskip(NEXT) | instid1(VALU_DEP_3)
	v_add_co_u32 v7, vcc_lo, v16, v7
	v_add_co_ci_u32_e32 v8, vcc_lo, 0, v8, vcc_lo
	s_delay_alu instid0(VALU_DEP_2) | instskip(NEXT) | instid1(VALU_DEP_2)
	v_add_co_u32 v7, vcc_lo, v7, v11
	v_add_co_ci_u32_e32 v7, vcc_lo, v8, v12, vcc_lo
	v_add_co_ci_u32_e32 v8, vcc_lo, 0, v14, vcc_lo
	s_delay_alu instid0(VALU_DEP_2) | instskip(NEXT) | instid1(VALU_DEP_2)
	v_add_co_u32 v11, vcc_lo, v7, v13
	v_add_co_ci_u32_e32 v12, vcc_lo, 0, v8, vcc_lo
	s_delay_alu instid0(VALU_DEP_2) | instskip(SKIP_1) | instid1(VALU_DEP_3)
	v_mul_lo_u32 v13, s39, v11
	v_mad_u64_u32 v[7:8], null, s38, v11, 0
	v_mul_lo_u32 v14, s38, v12
	s_delay_alu instid0(VALU_DEP_2) | instskip(NEXT) | instid1(VALU_DEP_2)
	v_sub_co_u32 v7, vcc_lo, v9, v7
	v_add3_u32 v8, v8, v14, v13
	s_delay_alu instid0(VALU_DEP_1) | instskip(NEXT) | instid1(VALU_DEP_1)
	v_sub_nc_u32_e32 v13, v10, v8
	v_subrev_co_ci_u32_e64 v9, s6, s39, v13, vcc_lo
	v_add_co_u32 v13, s6, v11, 2
	s_delay_alu instid0(VALU_DEP_1) | instskip(SKIP_3) | instid1(VALU_DEP_3)
	v_add_co_ci_u32_e64 v14, s6, 0, v12, s6
	v_sub_co_u32 v15, s6, v7, s38
	v_sub_co_ci_u32_e32 v8, vcc_lo, v10, v8, vcc_lo
	v_subrev_co_ci_u32_e64 v9, s6, 0, v9, s6
	v_cmp_le_u32_e32 vcc_lo, s38, v15
	s_delay_alu instid0(VALU_DEP_3) | instskip(SKIP_1) | instid1(VALU_DEP_4)
	v_cmp_eq_u32_e64 s6, s39, v8
	v_cndmask_b32_e64 v10, 0, -1, vcc_lo
	v_cmp_le_u32_e32 vcc_lo, s39, v9
	v_cndmask_b32_e64 v15, 0, -1, vcc_lo
	v_cmp_le_u32_e32 vcc_lo, s38, v7
	;; [unrolled: 2-line block ×3, first 2 shown]
	v_cndmask_b32_e64 v16, 0, -1, vcc_lo
	v_cmp_eq_u32_e32 vcc_lo, s39, v9
	s_delay_alu instid0(VALU_DEP_2) | instskip(SKIP_3) | instid1(VALU_DEP_3)
	v_cndmask_b32_e64 v7, v16, v7, s6
	v_cndmask_b32_e32 v9, v15, v10, vcc_lo
	v_add_co_u32 v10, vcc_lo, v11, 1
	v_add_co_ci_u32_e32 v15, vcc_lo, 0, v12, vcc_lo
	v_cmp_ne_u32_e32 vcc_lo, 0, v9
	s_delay_alu instid0(VALU_DEP_2) | instskip(SKIP_1) | instid1(VALU_DEP_2)
	v_dual_cndmask_b32 v8, v15, v14 :: v_dual_cndmask_b32 v9, v10, v13
	v_cmp_ne_u32_e32 vcc_lo, 0, v7
	v_dual_cndmask_b32 v8, v12, v8 :: v_dual_cndmask_b32 v7, v11, v9
                                        ; implicit-def: $vgpr9
.LBB10_25:
	s_and_not1_saveexec_b32 s6, s8
	s_cbranch_execz .LBB10_27
; %bb.26:
	v_cvt_f32_u32_e32 v7, s38
	s_sub_i32 s8, 0, s38
	s_delay_alu instid0(VALU_DEP_1) | instskip(SKIP_2) | instid1(VALU_DEP_1)
	v_rcp_iflag_f32_e32 v7, v7
	s_waitcnt_depctr 0xfff
	v_mul_f32_e32 v7, 0x4f7ffffe, v7
	v_cvt_u32_f32_e32 v7, v7
	s_delay_alu instid0(VALU_DEP_1) | instskip(NEXT) | instid1(VALU_DEP_1)
	v_mul_lo_u32 v8, s8, v7
	v_mul_hi_u32 v8, v7, v8
	s_delay_alu instid0(VALU_DEP_1) | instskip(NEXT) | instid1(VALU_DEP_1)
	v_add_nc_u32_e32 v7, v7, v8
	v_mul_hi_u32 v7, v9, v7
	s_delay_alu instid0(VALU_DEP_1) | instskip(NEXT) | instid1(VALU_DEP_1)
	v_mul_lo_u32 v8, v7, s38
	v_sub_nc_u32_e32 v8, v9, v8
	v_add_nc_u32_e32 v9, 1, v7
	s_delay_alu instid0(VALU_DEP_2) | instskip(SKIP_1) | instid1(VALU_DEP_2)
	v_subrev_nc_u32_e32 v10, s38, v8
	v_cmp_le_u32_e32 vcc_lo, s38, v8
	v_dual_cndmask_b32 v8, v8, v10 :: v_dual_cndmask_b32 v7, v7, v9
	s_delay_alu instid0(VALU_DEP_1) | instskip(NEXT) | instid1(VALU_DEP_2)
	v_cmp_le_u32_e32 vcc_lo, s38, v8
	v_dual_mov_b32 v8, 0 :: v_dual_add_nc_u32 v9, 1, v7
	s_delay_alu instid0(VALU_DEP_1)
	v_cndmask_b32_e32 v7, v7, v9, vcc_lo
.LBB10_27:
	s_or_b32 exec_lo, exec_lo, s6
.LBB10_28:
	s_delay_alu instid0(SALU_CYCLE_1) | instskip(SKIP_2) | instid1(VALU_DEP_2)
	s_or_b32 exec_lo, exec_lo, s7
	v_or_b32_e32 v36, 0x400, v0
	v_dual_mov_b32 v9, v33 :: v_dual_mov_b32 v10, v34
	v_cmp_gt_u32_e64 s6, s49, v36
	s_delay_alu instid0(VALU_DEP_1)
	s_and_saveexec_b32 s8, s6
	s_cbranch_execz .LBB10_34
; %bb.29:
	v_add_co_u32 v11, s7, s36, v36
	s_delay_alu instid0(VALU_DEP_1) | instskip(SKIP_1) | instid1(VALU_DEP_2)
	v_add_co_ci_u32_e64 v12, null, s37, 0, s7
	v_mov_b32_e32 v9, 0
	v_or_b32_e32 v10, s39, v12
	s_delay_alu instid0(VALU_DEP_1) | instskip(SKIP_1) | instid1(SALU_CYCLE_1)
	v_cmp_ne_u64_e32 vcc_lo, 0, v[9:10]
                                        ; implicit-def: $vgpr9_vgpr10
	s_and_saveexec_b32 s7, vcc_lo
	s_xor_b32 s9, exec_lo, s7
	s_cbranch_execz .LBB10_31
; %bb.30:
	v_cvt_f32_u32_e32 v9, s38
	v_cvt_f32_u32_e32 v10, s39
	s_sub_u32 s7, 0, s38
	s_subb_u32 s10, 0, s39
	s_delay_alu instid0(VALU_DEP_1) | instskip(NEXT) | instid1(VALU_DEP_1)
	v_fmamk_f32 v9, v10, 0x4f800000, v9
	v_rcp_f32_e32 v9, v9
	s_waitcnt_depctr 0xfff
	v_mul_f32_e32 v9, 0x5f7ffffc, v9
	s_delay_alu instid0(VALU_DEP_1) | instskip(NEXT) | instid1(VALU_DEP_1)
	v_mul_f32_e32 v10, 0x2f800000, v9
	v_trunc_f32_e32 v10, v10
	s_delay_alu instid0(VALU_DEP_1) | instskip(SKIP_1) | instid1(VALU_DEP_2)
	v_fmamk_f32 v9, v10, 0xcf800000, v9
	v_cvt_u32_f32_e32 v10, v10
	v_cvt_u32_f32_e32 v9, v9
	s_delay_alu instid0(VALU_DEP_2) | instskip(NEXT) | instid1(VALU_DEP_2)
	v_mul_lo_u32 v13, s7, v10
	v_mul_hi_u32 v14, s7, v9
	v_mul_lo_u32 v15, s10, v9
	s_delay_alu instid0(VALU_DEP_2) | instskip(SKIP_1) | instid1(VALU_DEP_2)
	v_add_nc_u32_e32 v13, v14, v13
	v_mul_lo_u32 v14, s7, v9
	v_add_nc_u32_e32 v13, v13, v15
	s_delay_alu instid0(VALU_DEP_2) | instskip(NEXT) | instid1(VALU_DEP_2)
	v_mul_hi_u32 v15, v9, v14
	v_mul_lo_u32 v16, v9, v13
	v_mul_hi_u32 v17, v9, v13
	v_mul_hi_u32 v18, v10, v14
	v_mul_lo_u32 v14, v10, v14
	v_mul_hi_u32 v19, v10, v13
	v_mul_lo_u32 v13, v10, v13
	v_add_co_u32 v15, vcc_lo, v15, v16
	v_add_co_ci_u32_e32 v16, vcc_lo, 0, v17, vcc_lo
	s_delay_alu instid0(VALU_DEP_2) | instskip(NEXT) | instid1(VALU_DEP_2)
	v_add_co_u32 v14, vcc_lo, v15, v14
	v_add_co_ci_u32_e32 v14, vcc_lo, v16, v18, vcc_lo
	v_add_co_ci_u32_e32 v15, vcc_lo, 0, v19, vcc_lo
	s_delay_alu instid0(VALU_DEP_2) | instskip(NEXT) | instid1(VALU_DEP_2)
	v_add_co_u32 v13, vcc_lo, v14, v13
	v_add_co_ci_u32_e32 v14, vcc_lo, 0, v15, vcc_lo
	s_delay_alu instid0(VALU_DEP_2) | instskip(NEXT) | instid1(VALU_DEP_2)
	v_add_co_u32 v9, vcc_lo, v9, v13
	v_add_co_ci_u32_e32 v10, vcc_lo, v10, v14, vcc_lo
	s_delay_alu instid0(VALU_DEP_2) | instskip(SKIP_1) | instid1(VALU_DEP_3)
	v_mul_hi_u32 v13, s7, v9
	v_mul_lo_u32 v15, s10, v9
	v_mul_lo_u32 v14, s7, v10
	s_delay_alu instid0(VALU_DEP_1) | instskip(SKIP_1) | instid1(VALU_DEP_2)
	v_add_nc_u32_e32 v13, v13, v14
	v_mul_lo_u32 v14, s7, v9
	v_add_nc_u32_e32 v13, v13, v15
	s_delay_alu instid0(VALU_DEP_2) | instskip(NEXT) | instid1(VALU_DEP_2)
	v_mul_hi_u32 v15, v9, v14
	v_mul_lo_u32 v16, v9, v13
	v_mul_hi_u32 v17, v9, v13
	v_mul_hi_u32 v18, v10, v14
	v_mul_lo_u32 v14, v10, v14
	v_mul_hi_u32 v19, v10, v13
	v_mul_lo_u32 v13, v10, v13
	v_add_co_u32 v15, vcc_lo, v15, v16
	v_add_co_ci_u32_e32 v16, vcc_lo, 0, v17, vcc_lo
	s_delay_alu instid0(VALU_DEP_2) | instskip(NEXT) | instid1(VALU_DEP_2)
	v_add_co_u32 v14, vcc_lo, v15, v14
	v_add_co_ci_u32_e32 v14, vcc_lo, v16, v18, vcc_lo
	v_add_co_ci_u32_e32 v15, vcc_lo, 0, v19, vcc_lo
	s_delay_alu instid0(VALU_DEP_2) | instskip(NEXT) | instid1(VALU_DEP_2)
	v_add_co_u32 v13, vcc_lo, v14, v13
	v_add_co_ci_u32_e32 v14, vcc_lo, 0, v15, vcc_lo
	s_delay_alu instid0(VALU_DEP_2) | instskip(NEXT) | instid1(VALU_DEP_2)
	v_add_co_u32 v15, vcc_lo, v9, v13
	v_add_co_ci_u32_e32 v17, vcc_lo, v10, v14, vcc_lo
	s_delay_alu instid0(VALU_DEP_2) | instskip(SKIP_1) | instid1(VALU_DEP_3)
	v_mul_hi_u32 v18, v11, v15
	v_mad_u64_u32 v[13:14], null, v12, v15, 0
	v_mad_u64_u32 v[9:10], null, v11, v17, 0
	;; [unrolled: 1-line block ×3, first 2 shown]
	s_delay_alu instid0(VALU_DEP_2) | instskip(NEXT) | instid1(VALU_DEP_3)
	v_add_co_u32 v9, vcc_lo, v18, v9
	v_add_co_ci_u32_e32 v10, vcc_lo, 0, v10, vcc_lo
	s_delay_alu instid0(VALU_DEP_2) | instskip(NEXT) | instid1(VALU_DEP_2)
	v_add_co_u32 v9, vcc_lo, v9, v13
	v_add_co_ci_u32_e32 v9, vcc_lo, v10, v14, vcc_lo
	v_add_co_ci_u32_e32 v10, vcc_lo, 0, v16, vcc_lo
	s_delay_alu instid0(VALU_DEP_2) | instskip(NEXT) | instid1(VALU_DEP_2)
	v_add_co_u32 v13, vcc_lo, v9, v15
	v_add_co_ci_u32_e32 v14, vcc_lo, 0, v10, vcc_lo
	s_delay_alu instid0(VALU_DEP_2) | instskip(SKIP_1) | instid1(VALU_DEP_3)
	v_mul_lo_u32 v15, s39, v13
	v_mad_u64_u32 v[9:10], null, s38, v13, 0
	v_mul_lo_u32 v16, s38, v14
	s_delay_alu instid0(VALU_DEP_2) | instskip(NEXT) | instid1(VALU_DEP_2)
	v_sub_co_u32 v9, vcc_lo, v11, v9
	v_add3_u32 v10, v10, v16, v15
	s_delay_alu instid0(VALU_DEP_1) | instskip(NEXT) | instid1(VALU_DEP_1)
	v_sub_nc_u32_e32 v15, v12, v10
	v_subrev_co_ci_u32_e64 v11, s7, s39, v15, vcc_lo
	v_add_co_u32 v15, s7, v13, 2
	s_delay_alu instid0(VALU_DEP_1) | instskip(SKIP_3) | instid1(VALU_DEP_3)
	v_add_co_ci_u32_e64 v16, s7, 0, v14, s7
	v_sub_co_u32 v17, s7, v9, s38
	v_sub_co_ci_u32_e32 v10, vcc_lo, v12, v10, vcc_lo
	v_subrev_co_ci_u32_e64 v11, s7, 0, v11, s7
	v_cmp_le_u32_e32 vcc_lo, s38, v17
	s_delay_alu instid0(VALU_DEP_3) | instskip(SKIP_1) | instid1(VALU_DEP_4)
	v_cmp_eq_u32_e64 s7, s39, v10
	v_cndmask_b32_e64 v12, 0, -1, vcc_lo
	v_cmp_le_u32_e32 vcc_lo, s39, v11
	v_cndmask_b32_e64 v17, 0, -1, vcc_lo
	v_cmp_le_u32_e32 vcc_lo, s38, v9
	;; [unrolled: 2-line block ×3, first 2 shown]
	v_cndmask_b32_e64 v18, 0, -1, vcc_lo
	v_cmp_eq_u32_e32 vcc_lo, s39, v11
	s_delay_alu instid0(VALU_DEP_2) | instskip(SKIP_3) | instid1(VALU_DEP_3)
	v_cndmask_b32_e64 v9, v18, v9, s7
	v_cndmask_b32_e32 v11, v17, v12, vcc_lo
	v_add_co_u32 v12, vcc_lo, v13, 1
	v_add_co_ci_u32_e32 v17, vcc_lo, 0, v14, vcc_lo
	v_cmp_ne_u32_e32 vcc_lo, 0, v11
	s_delay_alu instid0(VALU_DEP_2) | instskip(SKIP_1) | instid1(VALU_DEP_2)
	v_dual_cndmask_b32 v10, v17, v16 :: v_dual_cndmask_b32 v11, v12, v15
	v_cmp_ne_u32_e32 vcc_lo, 0, v9
	v_dual_cndmask_b32 v10, v14, v10 :: v_dual_cndmask_b32 v9, v13, v11
                                        ; implicit-def: $vgpr11
.LBB10_31:
	s_and_not1_saveexec_b32 s7, s9
	s_cbranch_execz .LBB10_33
; %bb.32:
	v_cvt_f32_u32_e32 v9, s38
	s_sub_i32 s9, 0, s38
	s_delay_alu instid0(VALU_DEP_1) | instskip(SKIP_2) | instid1(VALU_DEP_1)
	v_rcp_iflag_f32_e32 v9, v9
	s_waitcnt_depctr 0xfff
	v_mul_f32_e32 v9, 0x4f7ffffe, v9
	v_cvt_u32_f32_e32 v9, v9
	s_delay_alu instid0(VALU_DEP_1) | instskip(NEXT) | instid1(VALU_DEP_1)
	v_mul_lo_u32 v10, s9, v9
	v_mul_hi_u32 v10, v9, v10
	s_delay_alu instid0(VALU_DEP_1) | instskip(NEXT) | instid1(VALU_DEP_1)
	v_add_nc_u32_e32 v9, v9, v10
	v_mul_hi_u32 v9, v11, v9
	s_delay_alu instid0(VALU_DEP_1) | instskip(NEXT) | instid1(VALU_DEP_1)
	v_mul_lo_u32 v10, v9, s38
	v_sub_nc_u32_e32 v10, v11, v10
	v_add_nc_u32_e32 v11, 1, v9
	s_delay_alu instid0(VALU_DEP_2) | instskip(SKIP_1) | instid1(VALU_DEP_2)
	v_subrev_nc_u32_e32 v12, s38, v10
	v_cmp_le_u32_e32 vcc_lo, s38, v10
	v_dual_cndmask_b32 v10, v10, v12 :: v_dual_cndmask_b32 v9, v9, v11
	s_delay_alu instid0(VALU_DEP_1) | instskip(NEXT) | instid1(VALU_DEP_2)
	v_cmp_le_u32_e32 vcc_lo, s38, v10
	v_dual_mov_b32 v10, 0 :: v_dual_add_nc_u32 v11, 1, v9
	s_delay_alu instid0(VALU_DEP_1)
	v_cndmask_b32_e32 v9, v9, v11, vcc_lo
.LBB10_33:
	s_or_b32 exec_lo, exec_lo, s7
.LBB10_34:
	s_delay_alu instid0(SALU_CYCLE_1) | instskip(SKIP_2) | instid1(VALU_DEP_2)
	s_or_b32 exec_lo, exec_lo, s8
	v_or_b32_e32 v38, 0x500, v0
	v_dual_mov_b32 v11, v33 :: v_dual_mov_b32 v12, v34
	v_cmp_gt_u32_e64 s7, s49, v38
	s_delay_alu instid0(VALU_DEP_1)
	s_and_saveexec_b32 s9, s7
	s_cbranch_execz .LBB10_40
; %bb.35:
	v_add_co_u32 v13, s8, s36, v38
	s_delay_alu instid0(VALU_DEP_1) | instskip(SKIP_1) | instid1(VALU_DEP_2)
	v_add_co_ci_u32_e64 v14, null, s37, 0, s8
	v_mov_b32_e32 v11, 0
	v_or_b32_e32 v12, s39, v14
	s_delay_alu instid0(VALU_DEP_1) | instskip(SKIP_1) | instid1(SALU_CYCLE_1)
	v_cmp_ne_u64_e32 vcc_lo, 0, v[11:12]
                                        ; implicit-def: $vgpr11_vgpr12
	s_and_saveexec_b32 s8, vcc_lo
	s_xor_b32 s10, exec_lo, s8
	s_cbranch_execz .LBB10_37
; %bb.36:
	v_cvt_f32_u32_e32 v11, s38
	v_cvt_f32_u32_e32 v12, s39
	s_sub_u32 s8, 0, s38
	s_subb_u32 s11, 0, s39
	s_delay_alu instid0(VALU_DEP_1) | instskip(NEXT) | instid1(VALU_DEP_1)
	v_fmamk_f32 v11, v12, 0x4f800000, v11
	v_rcp_f32_e32 v11, v11
	s_waitcnt_depctr 0xfff
	v_mul_f32_e32 v11, 0x5f7ffffc, v11
	s_delay_alu instid0(VALU_DEP_1) | instskip(NEXT) | instid1(VALU_DEP_1)
	v_mul_f32_e32 v12, 0x2f800000, v11
	v_trunc_f32_e32 v12, v12
	s_delay_alu instid0(VALU_DEP_1) | instskip(SKIP_1) | instid1(VALU_DEP_2)
	v_fmamk_f32 v11, v12, 0xcf800000, v11
	v_cvt_u32_f32_e32 v12, v12
	v_cvt_u32_f32_e32 v11, v11
	s_delay_alu instid0(VALU_DEP_2) | instskip(NEXT) | instid1(VALU_DEP_2)
	v_mul_lo_u32 v15, s8, v12
	v_mul_hi_u32 v16, s8, v11
	v_mul_lo_u32 v17, s11, v11
	s_delay_alu instid0(VALU_DEP_2) | instskip(SKIP_1) | instid1(VALU_DEP_2)
	v_add_nc_u32_e32 v15, v16, v15
	v_mul_lo_u32 v16, s8, v11
	v_add_nc_u32_e32 v15, v15, v17
	s_delay_alu instid0(VALU_DEP_2) | instskip(NEXT) | instid1(VALU_DEP_2)
	v_mul_hi_u32 v17, v11, v16
	v_mul_lo_u32 v18, v11, v15
	v_mul_hi_u32 v19, v11, v15
	v_mul_hi_u32 v20, v12, v16
	v_mul_lo_u32 v16, v12, v16
	v_mul_hi_u32 v21, v12, v15
	v_mul_lo_u32 v15, v12, v15
	v_add_co_u32 v17, vcc_lo, v17, v18
	v_add_co_ci_u32_e32 v18, vcc_lo, 0, v19, vcc_lo
	s_delay_alu instid0(VALU_DEP_2) | instskip(NEXT) | instid1(VALU_DEP_2)
	v_add_co_u32 v16, vcc_lo, v17, v16
	v_add_co_ci_u32_e32 v16, vcc_lo, v18, v20, vcc_lo
	v_add_co_ci_u32_e32 v17, vcc_lo, 0, v21, vcc_lo
	s_delay_alu instid0(VALU_DEP_2) | instskip(NEXT) | instid1(VALU_DEP_2)
	v_add_co_u32 v15, vcc_lo, v16, v15
	v_add_co_ci_u32_e32 v16, vcc_lo, 0, v17, vcc_lo
	s_delay_alu instid0(VALU_DEP_2) | instskip(NEXT) | instid1(VALU_DEP_2)
	v_add_co_u32 v11, vcc_lo, v11, v15
	v_add_co_ci_u32_e32 v12, vcc_lo, v12, v16, vcc_lo
	s_delay_alu instid0(VALU_DEP_2) | instskip(SKIP_1) | instid1(VALU_DEP_3)
	v_mul_hi_u32 v15, s8, v11
	v_mul_lo_u32 v17, s11, v11
	v_mul_lo_u32 v16, s8, v12
	s_delay_alu instid0(VALU_DEP_1) | instskip(SKIP_1) | instid1(VALU_DEP_2)
	v_add_nc_u32_e32 v15, v15, v16
	v_mul_lo_u32 v16, s8, v11
	v_add_nc_u32_e32 v15, v15, v17
	s_delay_alu instid0(VALU_DEP_2) | instskip(NEXT) | instid1(VALU_DEP_2)
	v_mul_hi_u32 v17, v11, v16
	v_mul_lo_u32 v18, v11, v15
	v_mul_hi_u32 v19, v11, v15
	v_mul_hi_u32 v20, v12, v16
	v_mul_lo_u32 v16, v12, v16
	v_mul_hi_u32 v21, v12, v15
	v_mul_lo_u32 v15, v12, v15
	v_add_co_u32 v17, vcc_lo, v17, v18
	v_add_co_ci_u32_e32 v18, vcc_lo, 0, v19, vcc_lo
	s_delay_alu instid0(VALU_DEP_2) | instskip(NEXT) | instid1(VALU_DEP_2)
	v_add_co_u32 v16, vcc_lo, v17, v16
	v_add_co_ci_u32_e32 v16, vcc_lo, v18, v20, vcc_lo
	v_add_co_ci_u32_e32 v17, vcc_lo, 0, v21, vcc_lo
	s_delay_alu instid0(VALU_DEP_2) | instskip(NEXT) | instid1(VALU_DEP_2)
	v_add_co_u32 v15, vcc_lo, v16, v15
	v_add_co_ci_u32_e32 v16, vcc_lo, 0, v17, vcc_lo
	s_delay_alu instid0(VALU_DEP_2) | instskip(NEXT) | instid1(VALU_DEP_2)
	v_add_co_u32 v17, vcc_lo, v11, v15
	v_add_co_ci_u32_e32 v19, vcc_lo, v12, v16, vcc_lo
	s_delay_alu instid0(VALU_DEP_2) | instskip(SKIP_1) | instid1(VALU_DEP_3)
	v_mul_hi_u32 v20, v13, v17
	v_mad_u64_u32 v[15:16], null, v14, v17, 0
	v_mad_u64_u32 v[11:12], null, v13, v19, 0
	;; [unrolled: 1-line block ×3, first 2 shown]
	s_delay_alu instid0(VALU_DEP_2) | instskip(NEXT) | instid1(VALU_DEP_3)
	v_add_co_u32 v11, vcc_lo, v20, v11
	v_add_co_ci_u32_e32 v12, vcc_lo, 0, v12, vcc_lo
	s_delay_alu instid0(VALU_DEP_2) | instskip(NEXT) | instid1(VALU_DEP_2)
	v_add_co_u32 v11, vcc_lo, v11, v15
	v_add_co_ci_u32_e32 v11, vcc_lo, v12, v16, vcc_lo
	v_add_co_ci_u32_e32 v12, vcc_lo, 0, v18, vcc_lo
	s_delay_alu instid0(VALU_DEP_2) | instskip(NEXT) | instid1(VALU_DEP_2)
	v_add_co_u32 v15, vcc_lo, v11, v17
	v_add_co_ci_u32_e32 v16, vcc_lo, 0, v12, vcc_lo
	s_delay_alu instid0(VALU_DEP_2) | instskip(SKIP_1) | instid1(VALU_DEP_3)
	v_mul_lo_u32 v17, s39, v15
	v_mad_u64_u32 v[11:12], null, s38, v15, 0
	v_mul_lo_u32 v18, s38, v16
	s_delay_alu instid0(VALU_DEP_2) | instskip(NEXT) | instid1(VALU_DEP_2)
	v_sub_co_u32 v11, vcc_lo, v13, v11
	v_add3_u32 v12, v12, v18, v17
	s_delay_alu instid0(VALU_DEP_1) | instskip(NEXT) | instid1(VALU_DEP_1)
	v_sub_nc_u32_e32 v17, v14, v12
	v_subrev_co_ci_u32_e64 v13, s8, s39, v17, vcc_lo
	v_add_co_u32 v17, s8, v15, 2
	s_delay_alu instid0(VALU_DEP_1) | instskip(SKIP_3) | instid1(VALU_DEP_3)
	v_add_co_ci_u32_e64 v18, s8, 0, v16, s8
	v_sub_co_u32 v19, s8, v11, s38
	v_sub_co_ci_u32_e32 v12, vcc_lo, v14, v12, vcc_lo
	v_subrev_co_ci_u32_e64 v13, s8, 0, v13, s8
	v_cmp_le_u32_e32 vcc_lo, s38, v19
	s_delay_alu instid0(VALU_DEP_3) | instskip(SKIP_1) | instid1(VALU_DEP_4)
	v_cmp_eq_u32_e64 s8, s39, v12
	v_cndmask_b32_e64 v14, 0, -1, vcc_lo
	v_cmp_le_u32_e32 vcc_lo, s39, v13
	v_cndmask_b32_e64 v19, 0, -1, vcc_lo
	v_cmp_le_u32_e32 vcc_lo, s38, v11
	v_cndmask_b32_e64 v11, 0, -1, vcc_lo
	v_cmp_le_u32_e32 vcc_lo, s39, v12
	v_cndmask_b32_e64 v20, 0, -1, vcc_lo
	v_cmp_eq_u32_e32 vcc_lo, s39, v13
	s_delay_alu instid0(VALU_DEP_2) | instskip(SKIP_3) | instid1(VALU_DEP_3)
	v_cndmask_b32_e64 v11, v20, v11, s8
	v_cndmask_b32_e32 v13, v19, v14, vcc_lo
	v_add_co_u32 v14, vcc_lo, v15, 1
	v_add_co_ci_u32_e32 v19, vcc_lo, 0, v16, vcc_lo
	v_cmp_ne_u32_e32 vcc_lo, 0, v13
	s_delay_alu instid0(VALU_DEP_2) | instskip(SKIP_1) | instid1(VALU_DEP_2)
	v_dual_cndmask_b32 v12, v19, v18 :: v_dual_cndmask_b32 v13, v14, v17
	v_cmp_ne_u32_e32 vcc_lo, 0, v11
	v_dual_cndmask_b32 v12, v16, v12 :: v_dual_cndmask_b32 v11, v15, v13
                                        ; implicit-def: $vgpr13
.LBB10_37:
	s_and_not1_saveexec_b32 s8, s10
	s_cbranch_execz .LBB10_39
; %bb.38:
	v_cvt_f32_u32_e32 v11, s38
	s_sub_i32 s10, 0, s38
	s_delay_alu instid0(VALU_DEP_1) | instskip(SKIP_2) | instid1(VALU_DEP_1)
	v_rcp_iflag_f32_e32 v11, v11
	s_waitcnt_depctr 0xfff
	v_mul_f32_e32 v11, 0x4f7ffffe, v11
	v_cvt_u32_f32_e32 v11, v11
	s_delay_alu instid0(VALU_DEP_1) | instskip(NEXT) | instid1(VALU_DEP_1)
	v_mul_lo_u32 v12, s10, v11
	v_mul_hi_u32 v12, v11, v12
	s_delay_alu instid0(VALU_DEP_1) | instskip(NEXT) | instid1(VALU_DEP_1)
	v_add_nc_u32_e32 v11, v11, v12
	v_mul_hi_u32 v11, v13, v11
	s_delay_alu instid0(VALU_DEP_1) | instskip(NEXT) | instid1(VALU_DEP_1)
	v_mul_lo_u32 v12, v11, s38
	v_sub_nc_u32_e32 v12, v13, v12
	v_add_nc_u32_e32 v13, 1, v11
	s_delay_alu instid0(VALU_DEP_2) | instskip(SKIP_1) | instid1(VALU_DEP_2)
	v_subrev_nc_u32_e32 v14, s38, v12
	v_cmp_le_u32_e32 vcc_lo, s38, v12
	v_dual_cndmask_b32 v12, v12, v14 :: v_dual_cndmask_b32 v11, v11, v13
	s_delay_alu instid0(VALU_DEP_1) | instskip(NEXT) | instid1(VALU_DEP_2)
	v_cmp_le_u32_e32 vcc_lo, s38, v12
	v_dual_mov_b32 v12, 0 :: v_dual_add_nc_u32 v13, 1, v11
	s_delay_alu instid0(VALU_DEP_1)
	v_cndmask_b32_e32 v11, v11, v13, vcc_lo
.LBB10_39:
	s_or_b32 exec_lo, exec_lo, s8
.LBB10_40:
	s_delay_alu instid0(SALU_CYCLE_1) | instskip(SKIP_2) | instid1(VALU_DEP_2)
	s_or_b32 exec_lo, exec_lo, s9
	v_or_b32_e32 v40, 0x600, v0
	v_dual_mov_b32 v13, v33 :: v_dual_mov_b32 v14, v34
	v_cmp_gt_u32_e64 s8, s49, v40
	s_delay_alu instid0(VALU_DEP_1)
	s_and_saveexec_b32 s10, s8
	s_cbranch_execz .LBB10_46
; %bb.41:
	v_add_co_u32 v15, s9, s36, v40
	s_delay_alu instid0(VALU_DEP_1) | instskip(SKIP_1) | instid1(VALU_DEP_2)
	v_add_co_ci_u32_e64 v16, null, s37, 0, s9
	v_mov_b32_e32 v13, 0
	v_or_b32_e32 v14, s39, v16
	s_delay_alu instid0(VALU_DEP_1) | instskip(SKIP_1) | instid1(SALU_CYCLE_1)
	v_cmp_ne_u64_e32 vcc_lo, 0, v[13:14]
                                        ; implicit-def: $vgpr13_vgpr14
	s_and_saveexec_b32 s9, vcc_lo
	s_xor_b32 s11, exec_lo, s9
	s_cbranch_execz .LBB10_43
; %bb.42:
	v_cvt_f32_u32_e32 v13, s38
	v_cvt_f32_u32_e32 v14, s39
	s_sub_u32 s9, 0, s38
	s_subb_u32 s12, 0, s39
	s_delay_alu instid0(VALU_DEP_1) | instskip(NEXT) | instid1(VALU_DEP_1)
	v_fmamk_f32 v13, v14, 0x4f800000, v13
	v_rcp_f32_e32 v13, v13
	s_waitcnt_depctr 0xfff
	v_mul_f32_e32 v13, 0x5f7ffffc, v13
	s_delay_alu instid0(VALU_DEP_1) | instskip(NEXT) | instid1(VALU_DEP_1)
	v_mul_f32_e32 v14, 0x2f800000, v13
	v_trunc_f32_e32 v14, v14
	s_delay_alu instid0(VALU_DEP_1) | instskip(SKIP_1) | instid1(VALU_DEP_2)
	v_fmamk_f32 v13, v14, 0xcf800000, v13
	v_cvt_u32_f32_e32 v14, v14
	v_cvt_u32_f32_e32 v13, v13
	s_delay_alu instid0(VALU_DEP_2) | instskip(NEXT) | instid1(VALU_DEP_2)
	v_mul_lo_u32 v17, s9, v14
	v_mul_hi_u32 v18, s9, v13
	v_mul_lo_u32 v19, s12, v13
	s_delay_alu instid0(VALU_DEP_2) | instskip(SKIP_1) | instid1(VALU_DEP_2)
	v_add_nc_u32_e32 v17, v18, v17
	v_mul_lo_u32 v18, s9, v13
	v_add_nc_u32_e32 v17, v17, v19
	s_delay_alu instid0(VALU_DEP_2) | instskip(NEXT) | instid1(VALU_DEP_2)
	v_mul_hi_u32 v19, v13, v18
	v_mul_lo_u32 v20, v13, v17
	v_mul_hi_u32 v21, v13, v17
	v_mul_hi_u32 v22, v14, v18
	v_mul_lo_u32 v18, v14, v18
	v_mul_hi_u32 v23, v14, v17
	v_mul_lo_u32 v17, v14, v17
	v_add_co_u32 v19, vcc_lo, v19, v20
	v_add_co_ci_u32_e32 v20, vcc_lo, 0, v21, vcc_lo
	s_delay_alu instid0(VALU_DEP_2) | instskip(NEXT) | instid1(VALU_DEP_2)
	v_add_co_u32 v18, vcc_lo, v19, v18
	v_add_co_ci_u32_e32 v18, vcc_lo, v20, v22, vcc_lo
	v_add_co_ci_u32_e32 v19, vcc_lo, 0, v23, vcc_lo
	s_delay_alu instid0(VALU_DEP_2) | instskip(NEXT) | instid1(VALU_DEP_2)
	v_add_co_u32 v17, vcc_lo, v18, v17
	v_add_co_ci_u32_e32 v18, vcc_lo, 0, v19, vcc_lo
	s_delay_alu instid0(VALU_DEP_2) | instskip(NEXT) | instid1(VALU_DEP_2)
	v_add_co_u32 v13, vcc_lo, v13, v17
	v_add_co_ci_u32_e32 v14, vcc_lo, v14, v18, vcc_lo
	s_delay_alu instid0(VALU_DEP_2) | instskip(SKIP_1) | instid1(VALU_DEP_3)
	v_mul_hi_u32 v17, s9, v13
	v_mul_lo_u32 v19, s12, v13
	v_mul_lo_u32 v18, s9, v14
	s_delay_alu instid0(VALU_DEP_1) | instskip(SKIP_1) | instid1(VALU_DEP_2)
	v_add_nc_u32_e32 v17, v17, v18
	v_mul_lo_u32 v18, s9, v13
	v_add_nc_u32_e32 v17, v17, v19
	s_delay_alu instid0(VALU_DEP_2) | instskip(NEXT) | instid1(VALU_DEP_2)
	v_mul_hi_u32 v19, v13, v18
	v_mul_lo_u32 v20, v13, v17
	v_mul_hi_u32 v21, v13, v17
	v_mul_hi_u32 v22, v14, v18
	v_mul_lo_u32 v18, v14, v18
	v_mul_hi_u32 v23, v14, v17
	v_mul_lo_u32 v17, v14, v17
	v_add_co_u32 v19, vcc_lo, v19, v20
	v_add_co_ci_u32_e32 v20, vcc_lo, 0, v21, vcc_lo
	s_delay_alu instid0(VALU_DEP_2) | instskip(NEXT) | instid1(VALU_DEP_2)
	v_add_co_u32 v18, vcc_lo, v19, v18
	v_add_co_ci_u32_e32 v18, vcc_lo, v20, v22, vcc_lo
	v_add_co_ci_u32_e32 v19, vcc_lo, 0, v23, vcc_lo
	s_delay_alu instid0(VALU_DEP_2) | instskip(NEXT) | instid1(VALU_DEP_2)
	v_add_co_u32 v17, vcc_lo, v18, v17
	v_add_co_ci_u32_e32 v18, vcc_lo, 0, v19, vcc_lo
	s_delay_alu instid0(VALU_DEP_2) | instskip(NEXT) | instid1(VALU_DEP_2)
	v_add_co_u32 v19, vcc_lo, v13, v17
	v_add_co_ci_u32_e32 v21, vcc_lo, v14, v18, vcc_lo
	s_delay_alu instid0(VALU_DEP_2) | instskip(SKIP_1) | instid1(VALU_DEP_3)
	v_mul_hi_u32 v22, v15, v19
	v_mad_u64_u32 v[17:18], null, v16, v19, 0
	v_mad_u64_u32 v[13:14], null, v15, v21, 0
	;; [unrolled: 1-line block ×3, first 2 shown]
	s_delay_alu instid0(VALU_DEP_2) | instskip(NEXT) | instid1(VALU_DEP_3)
	v_add_co_u32 v13, vcc_lo, v22, v13
	v_add_co_ci_u32_e32 v14, vcc_lo, 0, v14, vcc_lo
	s_delay_alu instid0(VALU_DEP_2) | instskip(NEXT) | instid1(VALU_DEP_2)
	v_add_co_u32 v13, vcc_lo, v13, v17
	v_add_co_ci_u32_e32 v13, vcc_lo, v14, v18, vcc_lo
	v_add_co_ci_u32_e32 v14, vcc_lo, 0, v20, vcc_lo
	s_delay_alu instid0(VALU_DEP_2) | instskip(NEXT) | instid1(VALU_DEP_2)
	v_add_co_u32 v17, vcc_lo, v13, v19
	v_add_co_ci_u32_e32 v18, vcc_lo, 0, v14, vcc_lo
	s_delay_alu instid0(VALU_DEP_2) | instskip(SKIP_1) | instid1(VALU_DEP_3)
	v_mul_lo_u32 v19, s39, v17
	v_mad_u64_u32 v[13:14], null, s38, v17, 0
	v_mul_lo_u32 v20, s38, v18
	s_delay_alu instid0(VALU_DEP_2) | instskip(NEXT) | instid1(VALU_DEP_2)
	v_sub_co_u32 v13, vcc_lo, v15, v13
	v_add3_u32 v14, v14, v20, v19
	s_delay_alu instid0(VALU_DEP_1) | instskip(NEXT) | instid1(VALU_DEP_1)
	v_sub_nc_u32_e32 v19, v16, v14
	v_subrev_co_ci_u32_e64 v15, s9, s39, v19, vcc_lo
	v_add_co_u32 v19, s9, v17, 2
	s_delay_alu instid0(VALU_DEP_1) | instskip(SKIP_3) | instid1(VALU_DEP_3)
	v_add_co_ci_u32_e64 v20, s9, 0, v18, s9
	v_sub_co_u32 v21, s9, v13, s38
	v_sub_co_ci_u32_e32 v14, vcc_lo, v16, v14, vcc_lo
	v_subrev_co_ci_u32_e64 v15, s9, 0, v15, s9
	v_cmp_le_u32_e32 vcc_lo, s38, v21
	s_delay_alu instid0(VALU_DEP_3) | instskip(SKIP_1) | instid1(VALU_DEP_4)
	v_cmp_eq_u32_e64 s9, s39, v14
	v_cndmask_b32_e64 v16, 0, -1, vcc_lo
	v_cmp_le_u32_e32 vcc_lo, s39, v15
	v_cndmask_b32_e64 v21, 0, -1, vcc_lo
	v_cmp_le_u32_e32 vcc_lo, s38, v13
	;; [unrolled: 2-line block ×3, first 2 shown]
	v_cndmask_b32_e64 v22, 0, -1, vcc_lo
	v_cmp_eq_u32_e32 vcc_lo, s39, v15
	s_delay_alu instid0(VALU_DEP_2) | instskip(SKIP_3) | instid1(VALU_DEP_3)
	v_cndmask_b32_e64 v13, v22, v13, s9
	v_cndmask_b32_e32 v15, v21, v16, vcc_lo
	v_add_co_u32 v16, vcc_lo, v17, 1
	v_add_co_ci_u32_e32 v21, vcc_lo, 0, v18, vcc_lo
	v_cmp_ne_u32_e32 vcc_lo, 0, v15
	s_delay_alu instid0(VALU_DEP_2) | instskip(SKIP_1) | instid1(VALU_DEP_2)
	v_dual_cndmask_b32 v14, v21, v20 :: v_dual_cndmask_b32 v15, v16, v19
	v_cmp_ne_u32_e32 vcc_lo, 0, v13
	v_dual_cndmask_b32 v14, v18, v14 :: v_dual_cndmask_b32 v13, v17, v15
                                        ; implicit-def: $vgpr15
.LBB10_43:
	s_and_not1_saveexec_b32 s9, s11
	s_cbranch_execz .LBB10_45
; %bb.44:
	v_cvt_f32_u32_e32 v13, s38
	s_sub_i32 s11, 0, s38
	s_delay_alu instid0(VALU_DEP_1) | instskip(SKIP_2) | instid1(VALU_DEP_1)
	v_rcp_iflag_f32_e32 v13, v13
	s_waitcnt_depctr 0xfff
	v_mul_f32_e32 v13, 0x4f7ffffe, v13
	v_cvt_u32_f32_e32 v13, v13
	s_delay_alu instid0(VALU_DEP_1) | instskip(NEXT) | instid1(VALU_DEP_1)
	v_mul_lo_u32 v14, s11, v13
	v_mul_hi_u32 v14, v13, v14
	s_delay_alu instid0(VALU_DEP_1) | instskip(NEXT) | instid1(VALU_DEP_1)
	v_add_nc_u32_e32 v13, v13, v14
	v_mul_hi_u32 v13, v15, v13
	s_delay_alu instid0(VALU_DEP_1) | instskip(NEXT) | instid1(VALU_DEP_1)
	v_mul_lo_u32 v14, v13, s38
	v_sub_nc_u32_e32 v14, v15, v14
	v_add_nc_u32_e32 v15, 1, v13
	s_delay_alu instid0(VALU_DEP_2) | instskip(SKIP_1) | instid1(VALU_DEP_2)
	v_subrev_nc_u32_e32 v16, s38, v14
	v_cmp_le_u32_e32 vcc_lo, s38, v14
	v_dual_cndmask_b32 v14, v14, v16 :: v_dual_cndmask_b32 v13, v13, v15
	s_delay_alu instid0(VALU_DEP_1) | instskip(NEXT) | instid1(VALU_DEP_2)
	v_cmp_le_u32_e32 vcc_lo, s38, v14
	v_dual_mov_b32 v14, 0 :: v_dual_add_nc_u32 v15, 1, v13
	s_delay_alu instid0(VALU_DEP_1)
	v_cndmask_b32_e32 v13, v13, v15, vcc_lo
.LBB10_45:
	s_or_b32 exec_lo, exec_lo, s9
.LBB10_46:
	s_delay_alu instid0(SALU_CYCLE_1) | instskip(SKIP_2) | instid1(VALU_DEP_2)
	s_or_b32 exec_lo, exec_lo, s10
	v_or_b32_e32 v41, 0x700, v0
	v_dual_mov_b32 v15, v33 :: v_dual_mov_b32 v16, v34
	v_cmp_gt_u32_e64 s9, s49, v41
	s_delay_alu instid0(VALU_DEP_1)
	s_and_saveexec_b32 s11, s9
	s_cbranch_execz .LBB10_52
; %bb.47:
	v_add_co_u32 v17, s10, s36, v41
	s_delay_alu instid0(VALU_DEP_1) | instskip(SKIP_1) | instid1(VALU_DEP_2)
	v_add_co_ci_u32_e64 v18, null, s37, 0, s10
	v_mov_b32_e32 v15, 0
	v_or_b32_e32 v16, s39, v18
	s_delay_alu instid0(VALU_DEP_1) | instskip(SKIP_1) | instid1(SALU_CYCLE_1)
	v_cmp_ne_u64_e32 vcc_lo, 0, v[15:16]
                                        ; implicit-def: $vgpr15_vgpr16
	s_and_saveexec_b32 s10, vcc_lo
	s_xor_b32 s12, exec_lo, s10
	s_cbranch_execz .LBB10_49
; %bb.48:
	v_cvt_f32_u32_e32 v15, s38
	v_cvt_f32_u32_e32 v16, s39
	s_sub_u32 s10, 0, s38
	s_subb_u32 s13, 0, s39
	s_delay_alu instid0(VALU_DEP_1) | instskip(NEXT) | instid1(VALU_DEP_1)
	v_fmamk_f32 v15, v16, 0x4f800000, v15
	v_rcp_f32_e32 v15, v15
	s_waitcnt_depctr 0xfff
	v_mul_f32_e32 v15, 0x5f7ffffc, v15
	s_delay_alu instid0(VALU_DEP_1) | instskip(NEXT) | instid1(VALU_DEP_1)
	v_mul_f32_e32 v16, 0x2f800000, v15
	v_trunc_f32_e32 v16, v16
	s_delay_alu instid0(VALU_DEP_1) | instskip(SKIP_1) | instid1(VALU_DEP_2)
	v_fmamk_f32 v15, v16, 0xcf800000, v15
	v_cvt_u32_f32_e32 v16, v16
	v_cvt_u32_f32_e32 v15, v15
	s_delay_alu instid0(VALU_DEP_2) | instskip(NEXT) | instid1(VALU_DEP_2)
	v_mul_lo_u32 v19, s10, v16
	v_mul_hi_u32 v20, s10, v15
	v_mul_lo_u32 v21, s13, v15
	s_delay_alu instid0(VALU_DEP_2) | instskip(SKIP_1) | instid1(VALU_DEP_2)
	v_add_nc_u32_e32 v19, v20, v19
	v_mul_lo_u32 v20, s10, v15
	v_add_nc_u32_e32 v19, v19, v21
	s_delay_alu instid0(VALU_DEP_2) | instskip(NEXT) | instid1(VALU_DEP_2)
	v_mul_hi_u32 v21, v15, v20
	v_mul_lo_u32 v22, v15, v19
	v_mul_hi_u32 v23, v15, v19
	v_mul_hi_u32 v24, v16, v20
	v_mul_lo_u32 v20, v16, v20
	v_mul_hi_u32 v25, v16, v19
	v_mul_lo_u32 v19, v16, v19
	v_add_co_u32 v21, vcc_lo, v21, v22
	v_add_co_ci_u32_e32 v22, vcc_lo, 0, v23, vcc_lo
	s_delay_alu instid0(VALU_DEP_2) | instskip(NEXT) | instid1(VALU_DEP_2)
	v_add_co_u32 v20, vcc_lo, v21, v20
	v_add_co_ci_u32_e32 v20, vcc_lo, v22, v24, vcc_lo
	v_add_co_ci_u32_e32 v21, vcc_lo, 0, v25, vcc_lo
	s_delay_alu instid0(VALU_DEP_2) | instskip(NEXT) | instid1(VALU_DEP_2)
	v_add_co_u32 v19, vcc_lo, v20, v19
	v_add_co_ci_u32_e32 v20, vcc_lo, 0, v21, vcc_lo
	s_delay_alu instid0(VALU_DEP_2) | instskip(NEXT) | instid1(VALU_DEP_2)
	v_add_co_u32 v15, vcc_lo, v15, v19
	v_add_co_ci_u32_e32 v16, vcc_lo, v16, v20, vcc_lo
	s_delay_alu instid0(VALU_DEP_2) | instskip(SKIP_1) | instid1(VALU_DEP_3)
	v_mul_hi_u32 v19, s10, v15
	v_mul_lo_u32 v21, s13, v15
	v_mul_lo_u32 v20, s10, v16
	s_delay_alu instid0(VALU_DEP_1) | instskip(SKIP_1) | instid1(VALU_DEP_2)
	v_add_nc_u32_e32 v19, v19, v20
	v_mul_lo_u32 v20, s10, v15
	v_add_nc_u32_e32 v19, v19, v21
	s_delay_alu instid0(VALU_DEP_2) | instskip(NEXT) | instid1(VALU_DEP_2)
	v_mul_hi_u32 v21, v15, v20
	v_mul_lo_u32 v22, v15, v19
	v_mul_hi_u32 v23, v15, v19
	v_mul_hi_u32 v24, v16, v20
	v_mul_lo_u32 v20, v16, v20
	v_mul_hi_u32 v25, v16, v19
	v_mul_lo_u32 v19, v16, v19
	v_add_co_u32 v21, vcc_lo, v21, v22
	v_add_co_ci_u32_e32 v22, vcc_lo, 0, v23, vcc_lo
	s_delay_alu instid0(VALU_DEP_2) | instskip(NEXT) | instid1(VALU_DEP_2)
	v_add_co_u32 v20, vcc_lo, v21, v20
	v_add_co_ci_u32_e32 v20, vcc_lo, v22, v24, vcc_lo
	v_add_co_ci_u32_e32 v21, vcc_lo, 0, v25, vcc_lo
	s_delay_alu instid0(VALU_DEP_2) | instskip(NEXT) | instid1(VALU_DEP_2)
	v_add_co_u32 v19, vcc_lo, v20, v19
	v_add_co_ci_u32_e32 v20, vcc_lo, 0, v21, vcc_lo
	s_delay_alu instid0(VALU_DEP_2) | instskip(NEXT) | instid1(VALU_DEP_2)
	v_add_co_u32 v21, vcc_lo, v15, v19
	v_add_co_ci_u32_e32 v23, vcc_lo, v16, v20, vcc_lo
	s_delay_alu instid0(VALU_DEP_2) | instskip(SKIP_1) | instid1(VALU_DEP_3)
	v_mul_hi_u32 v24, v17, v21
	v_mad_u64_u32 v[19:20], null, v18, v21, 0
	v_mad_u64_u32 v[15:16], null, v17, v23, 0
	;; [unrolled: 1-line block ×3, first 2 shown]
	s_delay_alu instid0(VALU_DEP_2) | instskip(NEXT) | instid1(VALU_DEP_3)
	v_add_co_u32 v15, vcc_lo, v24, v15
	v_add_co_ci_u32_e32 v16, vcc_lo, 0, v16, vcc_lo
	s_delay_alu instid0(VALU_DEP_2) | instskip(NEXT) | instid1(VALU_DEP_2)
	v_add_co_u32 v15, vcc_lo, v15, v19
	v_add_co_ci_u32_e32 v15, vcc_lo, v16, v20, vcc_lo
	v_add_co_ci_u32_e32 v16, vcc_lo, 0, v22, vcc_lo
	s_delay_alu instid0(VALU_DEP_2) | instskip(NEXT) | instid1(VALU_DEP_2)
	v_add_co_u32 v19, vcc_lo, v15, v21
	v_add_co_ci_u32_e32 v20, vcc_lo, 0, v16, vcc_lo
	s_delay_alu instid0(VALU_DEP_2) | instskip(SKIP_1) | instid1(VALU_DEP_3)
	v_mul_lo_u32 v21, s39, v19
	v_mad_u64_u32 v[15:16], null, s38, v19, 0
	v_mul_lo_u32 v22, s38, v20
	s_delay_alu instid0(VALU_DEP_2) | instskip(NEXT) | instid1(VALU_DEP_2)
	v_sub_co_u32 v15, vcc_lo, v17, v15
	v_add3_u32 v16, v16, v22, v21
	s_delay_alu instid0(VALU_DEP_1) | instskip(NEXT) | instid1(VALU_DEP_1)
	v_sub_nc_u32_e32 v21, v18, v16
	v_subrev_co_ci_u32_e64 v17, s10, s39, v21, vcc_lo
	v_add_co_u32 v21, s10, v19, 2
	s_delay_alu instid0(VALU_DEP_1) | instskip(SKIP_3) | instid1(VALU_DEP_3)
	v_add_co_ci_u32_e64 v22, s10, 0, v20, s10
	v_sub_co_u32 v23, s10, v15, s38
	v_sub_co_ci_u32_e32 v16, vcc_lo, v18, v16, vcc_lo
	v_subrev_co_ci_u32_e64 v17, s10, 0, v17, s10
	v_cmp_le_u32_e32 vcc_lo, s38, v23
	s_delay_alu instid0(VALU_DEP_3) | instskip(SKIP_1) | instid1(VALU_DEP_4)
	v_cmp_eq_u32_e64 s10, s39, v16
	v_cndmask_b32_e64 v18, 0, -1, vcc_lo
	v_cmp_le_u32_e32 vcc_lo, s39, v17
	v_cndmask_b32_e64 v23, 0, -1, vcc_lo
	v_cmp_le_u32_e32 vcc_lo, s38, v15
	;; [unrolled: 2-line block ×3, first 2 shown]
	v_cndmask_b32_e64 v24, 0, -1, vcc_lo
	v_cmp_eq_u32_e32 vcc_lo, s39, v17
	s_delay_alu instid0(VALU_DEP_2) | instskip(SKIP_3) | instid1(VALU_DEP_3)
	v_cndmask_b32_e64 v15, v24, v15, s10
	v_cndmask_b32_e32 v17, v23, v18, vcc_lo
	v_add_co_u32 v18, vcc_lo, v19, 1
	v_add_co_ci_u32_e32 v23, vcc_lo, 0, v20, vcc_lo
	v_cmp_ne_u32_e32 vcc_lo, 0, v17
	s_delay_alu instid0(VALU_DEP_2) | instskip(SKIP_1) | instid1(VALU_DEP_2)
	v_dual_cndmask_b32 v16, v23, v22 :: v_dual_cndmask_b32 v17, v18, v21
	v_cmp_ne_u32_e32 vcc_lo, 0, v15
	v_dual_cndmask_b32 v16, v20, v16 :: v_dual_cndmask_b32 v15, v19, v17
                                        ; implicit-def: $vgpr17
.LBB10_49:
	s_and_not1_saveexec_b32 s10, s12
	s_cbranch_execz .LBB10_51
; %bb.50:
	v_cvt_f32_u32_e32 v15, s38
	s_sub_i32 s12, 0, s38
	s_delay_alu instid0(VALU_DEP_1) | instskip(SKIP_2) | instid1(VALU_DEP_1)
	v_rcp_iflag_f32_e32 v15, v15
	s_waitcnt_depctr 0xfff
	v_mul_f32_e32 v15, 0x4f7ffffe, v15
	v_cvt_u32_f32_e32 v15, v15
	s_delay_alu instid0(VALU_DEP_1) | instskip(NEXT) | instid1(VALU_DEP_1)
	v_mul_lo_u32 v16, s12, v15
	v_mul_hi_u32 v16, v15, v16
	s_delay_alu instid0(VALU_DEP_1) | instskip(NEXT) | instid1(VALU_DEP_1)
	v_add_nc_u32_e32 v15, v15, v16
	v_mul_hi_u32 v15, v17, v15
	s_delay_alu instid0(VALU_DEP_1) | instskip(NEXT) | instid1(VALU_DEP_1)
	v_mul_lo_u32 v16, v15, s38
	v_sub_nc_u32_e32 v16, v17, v16
	v_add_nc_u32_e32 v17, 1, v15
	s_delay_alu instid0(VALU_DEP_2) | instskip(SKIP_1) | instid1(VALU_DEP_2)
	v_subrev_nc_u32_e32 v18, s38, v16
	v_cmp_le_u32_e32 vcc_lo, s38, v16
	v_dual_cndmask_b32 v16, v16, v18 :: v_dual_cndmask_b32 v15, v15, v17
	s_delay_alu instid0(VALU_DEP_1) | instskip(NEXT) | instid1(VALU_DEP_2)
	v_cmp_le_u32_e32 vcc_lo, s38, v16
	v_dual_mov_b32 v16, 0 :: v_dual_add_nc_u32 v17, 1, v15
	s_delay_alu instid0(VALU_DEP_1)
	v_cndmask_b32_e32 v15, v15, v17, vcc_lo
.LBB10_51:
	s_or_b32 exec_lo, exec_lo, s10
.LBB10_52:
	s_delay_alu instid0(SALU_CYCLE_1) | instskip(SKIP_2) | instid1(VALU_DEP_2)
	s_or_b32 exec_lo, exec_lo, s11
	v_or_b32_e32 v42, 0x800, v0
	v_dual_mov_b32 v17, v33 :: v_dual_mov_b32 v18, v34
	v_cmp_gt_u32_e64 s10, s49, v42
	s_delay_alu instid0(VALU_DEP_1)
	s_and_saveexec_b32 s12, s10
	s_cbranch_execz .LBB10_58
; %bb.53:
	v_add_co_u32 v19, s11, s36, v42
	s_delay_alu instid0(VALU_DEP_1) | instskip(SKIP_1) | instid1(VALU_DEP_2)
	v_add_co_ci_u32_e64 v20, null, s37, 0, s11
	v_mov_b32_e32 v17, 0
	v_or_b32_e32 v18, s39, v20
	s_delay_alu instid0(VALU_DEP_1) | instskip(SKIP_1) | instid1(SALU_CYCLE_1)
	v_cmp_ne_u64_e32 vcc_lo, 0, v[17:18]
                                        ; implicit-def: $vgpr17_vgpr18
	s_and_saveexec_b32 s11, vcc_lo
	s_xor_b32 s13, exec_lo, s11
	s_cbranch_execz .LBB10_55
; %bb.54:
	v_cvt_f32_u32_e32 v17, s38
	v_cvt_f32_u32_e32 v18, s39
	s_sub_u32 s11, 0, s38
	s_subb_u32 s14, 0, s39
	s_delay_alu instid0(VALU_DEP_1) | instskip(NEXT) | instid1(VALU_DEP_1)
	v_fmamk_f32 v17, v18, 0x4f800000, v17
	v_rcp_f32_e32 v17, v17
	s_waitcnt_depctr 0xfff
	v_mul_f32_e32 v17, 0x5f7ffffc, v17
	s_delay_alu instid0(VALU_DEP_1) | instskip(NEXT) | instid1(VALU_DEP_1)
	v_mul_f32_e32 v18, 0x2f800000, v17
	v_trunc_f32_e32 v18, v18
	s_delay_alu instid0(VALU_DEP_1) | instskip(SKIP_1) | instid1(VALU_DEP_2)
	v_fmamk_f32 v17, v18, 0xcf800000, v17
	v_cvt_u32_f32_e32 v18, v18
	v_cvt_u32_f32_e32 v17, v17
	s_delay_alu instid0(VALU_DEP_2) | instskip(NEXT) | instid1(VALU_DEP_2)
	v_mul_lo_u32 v21, s11, v18
	v_mul_hi_u32 v22, s11, v17
	v_mul_lo_u32 v23, s14, v17
	s_delay_alu instid0(VALU_DEP_2) | instskip(SKIP_1) | instid1(VALU_DEP_2)
	v_add_nc_u32_e32 v21, v22, v21
	v_mul_lo_u32 v22, s11, v17
	v_add_nc_u32_e32 v21, v21, v23
	s_delay_alu instid0(VALU_DEP_2) | instskip(NEXT) | instid1(VALU_DEP_2)
	v_mul_hi_u32 v23, v17, v22
	v_mul_lo_u32 v24, v17, v21
	v_mul_hi_u32 v25, v17, v21
	v_mul_hi_u32 v26, v18, v22
	v_mul_lo_u32 v22, v18, v22
	v_mul_hi_u32 v27, v18, v21
	v_mul_lo_u32 v21, v18, v21
	v_add_co_u32 v23, vcc_lo, v23, v24
	v_add_co_ci_u32_e32 v24, vcc_lo, 0, v25, vcc_lo
	s_delay_alu instid0(VALU_DEP_2) | instskip(NEXT) | instid1(VALU_DEP_2)
	v_add_co_u32 v22, vcc_lo, v23, v22
	v_add_co_ci_u32_e32 v22, vcc_lo, v24, v26, vcc_lo
	v_add_co_ci_u32_e32 v23, vcc_lo, 0, v27, vcc_lo
	s_delay_alu instid0(VALU_DEP_2) | instskip(NEXT) | instid1(VALU_DEP_2)
	v_add_co_u32 v21, vcc_lo, v22, v21
	v_add_co_ci_u32_e32 v22, vcc_lo, 0, v23, vcc_lo
	s_delay_alu instid0(VALU_DEP_2) | instskip(NEXT) | instid1(VALU_DEP_2)
	v_add_co_u32 v17, vcc_lo, v17, v21
	v_add_co_ci_u32_e32 v18, vcc_lo, v18, v22, vcc_lo
	s_delay_alu instid0(VALU_DEP_2) | instskip(SKIP_1) | instid1(VALU_DEP_3)
	v_mul_hi_u32 v21, s11, v17
	v_mul_lo_u32 v23, s14, v17
	v_mul_lo_u32 v22, s11, v18
	s_delay_alu instid0(VALU_DEP_1) | instskip(SKIP_1) | instid1(VALU_DEP_2)
	v_add_nc_u32_e32 v21, v21, v22
	v_mul_lo_u32 v22, s11, v17
	v_add_nc_u32_e32 v21, v21, v23
	s_delay_alu instid0(VALU_DEP_2) | instskip(NEXT) | instid1(VALU_DEP_2)
	v_mul_hi_u32 v23, v17, v22
	v_mul_lo_u32 v24, v17, v21
	v_mul_hi_u32 v25, v17, v21
	v_mul_hi_u32 v26, v18, v22
	v_mul_lo_u32 v22, v18, v22
	v_mul_hi_u32 v27, v18, v21
	v_mul_lo_u32 v21, v18, v21
	v_add_co_u32 v23, vcc_lo, v23, v24
	v_add_co_ci_u32_e32 v24, vcc_lo, 0, v25, vcc_lo
	s_delay_alu instid0(VALU_DEP_2) | instskip(NEXT) | instid1(VALU_DEP_2)
	v_add_co_u32 v22, vcc_lo, v23, v22
	v_add_co_ci_u32_e32 v22, vcc_lo, v24, v26, vcc_lo
	v_add_co_ci_u32_e32 v23, vcc_lo, 0, v27, vcc_lo
	s_delay_alu instid0(VALU_DEP_2) | instskip(NEXT) | instid1(VALU_DEP_2)
	v_add_co_u32 v21, vcc_lo, v22, v21
	v_add_co_ci_u32_e32 v22, vcc_lo, 0, v23, vcc_lo
	s_delay_alu instid0(VALU_DEP_2) | instskip(NEXT) | instid1(VALU_DEP_2)
	v_add_co_u32 v23, vcc_lo, v17, v21
	v_add_co_ci_u32_e32 v25, vcc_lo, v18, v22, vcc_lo
	s_delay_alu instid0(VALU_DEP_2) | instskip(SKIP_1) | instid1(VALU_DEP_3)
	v_mul_hi_u32 v26, v19, v23
	v_mad_u64_u32 v[21:22], null, v20, v23, 0
	v_mad_u64_u32 v[17:18], null, v19, v25, 0
	;; [unrolled: 1-line block ×3, first 2 shown]
	s_delay_alu instid0(VALU_DEP_2) | instskip(NEXT) | instid1(VALU_DEP_3)
	v_add_co_u32 v17, vcc_lo, v26, v17
	v_add_co_ci_u32_e32 v18, vcc_lo, 0, v18, vcc_lo
	s_delay_alu instid0(VALU_DEP_2) | instskip(NEXT) | instid1(VALU_DEP_2)
	v_add_co_u32 v17, vcc_lo, v17, v21
	v_add_co_ci_u32_e32 v17, vcc_lo, v18, v22, vcc_lo
	v_add_co_ci_u32_e32 v18, vcc_lo, 0, v24, vcc_lo
	s_delay_alu instid0(VALU_DEP_2) | instskip(NEXT) | instid1(VALU_DEP_2)
	v_add_co_u32 v21, vcc_lo, v17, v23
	v_add_co_ci_u32_e32 v22, vcc_lo, 0, v18, vcc_lo
	s_delay_alu instid0(VALU_DEP_2) | instskip(SKIP_1) | instid1(VALU_DEP_3)
	v_mul_lo_u32 v23, s39, v21
	v_mad_u64_u32 v[17:18], null, s38, v21, 0
	v_mul_lo_u32 v24, s38, v22
	s_delay_alu instid0(VALU_DEP_2) | instskip(NEXT) | instid1(VALU_DEP_2)
	v_sub_co_u32 v17, vcc_lo, v19, v17
	v_add3_u32 v18, v18, v24, v23
	s_delay_alu instid0(VALU_DEP_1) | instskip(NEXT) | instid1(VALU_DEP_1)
	v_sub_nc_u32_e32 v23, v20, v18
	v_subrev_co_ci_u32_e64 v19, s11, s39, v23, vcc_lo
	v_add_co_u32 v23, s11, v21, 2
	s_delay_alu instid0(VALU_DEP_1) | instskip(SKIP_3) | instid1(VALU_DEP_3)
	v_add_co_ci_u32_e64 v24, s11, 0, v22, s11
	v_sub_co_u32 v25, s11, v17, s38
	v_sub_co_ci_u32_e32 v18, vcc_lo, v20, v18, vcc_lo
	v_subrev_co_ci_u32_e64 v19, s11, 0, v19, s11
	v_cmp_le_u32_e32 vcc_lo, s38, v25
	s_delay_alu instid0(VALU_DEP_3) | instskip(SKIP_1) | instid1(VALU_DEP_4)
	v_cmp_eq_u32_e64 s11, s39, v18
	v_cndmask_b32_e64 v20, 0, -1, vcc_lo
	v_cmp_le_u32_e32 vcc_lo, s39, v19
	v_cndmask_b32_e64 v25, 0, -1, vcc_lo
	v_cmp_le_u32_e32 vcc_lo, s38, v17
	;; [unrolled: 2-line block ×3, first 2 shown]
	v_cndmask_b32_e64 v26, 0, -1, vcc_lo
	v_cmp_eq_u32_e32 vcc_lo, s39, v19
	s_delay_alu instid0(VALU_DEP_2) | instskip(SKIP_3) | instid1(VALU_DEP_3)
	v_cndmask_b32_e64 v17, v26, v17, s11
	v_cndmask_b32_e32 v19, v25, v20, vcc_lo
	v_add_co_u32 v20, vcc_lo, v21, 1
	v_add_co_ci_u32_e32 v25, vcc_lo, 0, v22, vcc_lo
	v_cmp_ne_u32_e32 vcc_lo, 0, v19
	s_delay_alu instid0(VALU_DEP_2) | instskip(SKIP_1) | instid1(VALU_DEP_2)
	v_dual_cndmask_b32 v18, v25, v24 :: v_dual_cndmask_b32 v19, v20, v23
	v_cmp_ne_u32_e32 vcc_lo, 0, v17
	v_dual_cndmask_b32 v18, v22, v18 :: v_dual_cndmask_b32 v17, v21, v19
                                        ; implicit-def: $vgpr19
.LBB10_55:
	s_and_not1_saveexec_b32 s11, s13
	s_cbranch_execz .LBB10_57
; %bb.56:
	v_cvt_f32_u32_e32 v17, s38
	s_sub_i32 s13, 0, s38
	s_delay_alu instid0(VALU_DEP_1) | instskip(SKIP_2) | instid1(VALU_DEP_1)
	v_rcp_iflag_f32_e32 v17, v17
	s_waitcnt_depctr 0xfff
	v_mul_f32_e32 v17, 0x4f7ffffe, v17
	v_cvt_u32_f32_e32 v17, v17
	s_delay_alu instid0(VALU_DEP_1) | instskip(NEXT) | instid1(VALU_DEP_1)
	v_mul_lo_u32 v18, s13, v17
	v_mul_hi_u32 v18, v17, v18
	s_delay_alu instid0(VALU_DEP_1) | instskip(NEXT) | instid1(VALU_DEP_1)
	v_add_nc_u32_e32 v17, v17, v18
	v_mul_hi_u32 v17, v19, v17
	s_delay_alu instid0(VALU_DEP_1) | instskip(NEXT) | instid1(VALU_DEP_1)
	v_mul_lo_u32 v18, v17, s38
	v_sub_nc_u32_e32 v18, v19, v18
	v_add_nc_u32_e32 v19, 1, v17
	s_delay_alu instid0(VALU_DEP_2) | instskip(SKIP_1) | instid1(VALU_DEP_2)
	v_subrev_nc_u32_e32 v20, s38, v18
	v_cmp_le_u32_e32 vcc_lo, s38, v18
	v_dual_cndmask_b32 v18, v18, v20 :: v_dual_cndmask_b32 v17, v17, v19
	s_delay_alu instid0(VALU_DEP_1) | instskip(NEXT) | instid1(VALU_DEP_2)
	v_cmp_le_u32_e32 vcc_lo, s38, v18
	v_dual_mov_b32 v18, 0 :: v_dual_add_nc_u32 v19, 1, v17
	s_delay_alu instid0(VALU_DEP_1)
	v_cndmask_b32_e32 v17, v17, v19, vcc_lo
.LBB10_57:
	s_or_b32 exec_lo, exec_lo, s11
.LBB10_58:
	s_delay_alu instid0(SALU_CYCLE_1) | instskip(SKIP_2) | instid1(VALU_DEP_2)
	s_or_b32 exec_lo, exec_lo, s12
	v_or_b32_e32 v43, 0x900, v0
	v_dual_mov_b32 v19, v33 :: v_dual_mov_b32 v20, v34
	v_cmp_gt_u32_e64 s11, s49, v43
	s_delay_alu instid0(VALU_DEP_1)
	s_and_saveexec_b32 s13, s11
	s_cbranch_execz .LBB10_64
; %bb.59:
	v_add_co_u32 v21, s12, s36, v43
	s_delay_alu instid0(VALU_DEP_1) | instskip(SKIP_1) | instid1(VALU_DEP_2)
	v_add_co_ci_u32_e64 v22, null, s37, 0, s12
	v_mov_b32_e32 v19, 0
	v_or_b32_e32 v20, s39, v22
	s_delay_alu instid0(VALU_DEP_1) | instskip(SKIP_1) | instid1(SALU_CYCLE_1)
	v_cmp_ne_u64_e32 vcc_lo, 0, v[19:20]
                                        ; implicit-def: $vgpr19_vgpr20
	s_and_saveexec_b32 s12, vcc_lo
	s_xor_b32 s14, exec_lo, s12
	s_cbranch_execz .LBB10_61
; %bb.60:
	v_cvt_f32_u32_e32 v19, s38
	v_cvt_f32_u32_e32 v20, s39
	s_sub_u32 s12, 0, s38
	s_subb_u32 s16, 0, s39
	s_delay_alu instid0(VALU_DEP_1) | instskip(NEXT) | instid1(VALU_DEP_1)
	v_fmamk_f32 v19, v20, 0x4f800000, v19
	v_rcp_f32_e32 v19, v19
	s_waitcnt_depctr 0xfff
	v_mul_f32_e32 v19, 0x5f7ffffc, v19
	s_delay_alu instid0(VALU_DEP_1) | instskip(NEXT) | instid1(VALU_DEP_1)
	v_mul_f32_e32 v20, 0x2f800000, v19
	v_trunc_f32_e32 v20, v20
	s_delay_alu instid0(VALU_DEP_1) | instskip(SKIP_1) | instid1(VALU_DEP_2)
	v_fmamk_f32 v19, v20, 0xcf800000, v19
	v_cvt_u32_f32_e32 v20, v20
	v_cvt_u32_f32_e32 v19, v19
	s_delay_alu instid0(VALU_DEP_2) | instskip(NEXT) | instid1(VALU_DEP_2)
	v_mul_lo_u32 v23, s12, v20
	v_mul_hi_u32 v24, s12, v19
	v_mul_lo_u32 v25, s16, v19
	s_delay_alu instid0(VALU_DEP_2) | instskip(SKIP_1) | instid1(VALU_DEP_2)
	v_add_nc_u32_e32 v23, v24, v23
	v_mul_lo_u32 v24, s12, v19
	v_add_nc_u32_e32 v23, v23, v25
	s_delay_alu instid0(VALU_DEP_2) | instskip(NEXT) | instid1(VALU_DEP_2)
	v_mul_hi_u32 v25, v19, v24
	v_mul_lo_u32 v26, v19, v23
	v_mul_hi_u32 v27, v19, v23
	v_mul_hi_u32 v28, v20, v24
	v_mul_lo_u32 v24, v20, v24
	v_mul_hi_u32 v29, v20, v23
	v_mul_lo_u32 v23, v20, v23
	v_add_co_u32 v25, vcc_lo, v25, v26
	v_add_co_ci_u32_e32 v26, vcc_lo, 0, v27, vcc_lo
	s_delay_alu instid0(VALU_DEP_2) | instskip(NEXT) | instid1(VALU_DEP_2)
	v_add_co_u32 v24, vcc_lo, v25, v24
	v_add_co_ci_u32_e32 v24, vcc_lo, v26, v28, vcc_lo
	v_add_co_ci_u32_e32 v25, vcc_lo, 0, v29, vcc_lo
	s_delay_alu instid0(VALU_DEP_2) | instskip(NEXT) | instid1(VALU_DEP_2)
	v_add_co_u32 v23, vcc_lo, v24, v23
	v_add_co_ci_u32_e32 v24, vcc_lo, 0, v25, vcc_lo
	s_delay_alu instid0(VALU_DEP_2) | instskip(NEXT) | instid1(VALU_DEP_2)
	v_add_co_u32 v19, vcc_lo, v19, v23
	v_add_co_ci_u32_e32 v20, vcc_lo, v20, v24, vcc_lo
	s_delay_alu instid0(VALU_DEP_2) | instskip(SKIP_1) | instid1(VALU_DEP_3)
	v_mul_hi_u32 v23, s12, v19
	v_mul_lo_u32 v25, s16, v19
	v_mul_lo_u32 v24, s12, v20
	s_delay_alu instid0(VALU_DEP_1) | instskip(SKIP_1) | instid1(VALU_DEP_2)
	v_add_nc_u32_e32 v23, v23, v24
	v_mul_lo_u32 v24, s12, v19
	v_add_nc_u32_e32 v23, v23, v25
	s_delay_alu instid0(VALU_DEP_2) | instskip(NEXT) | instid1(VALU_DEP_2)
	v_mul_hi_u32 v25, v19, v24
	v_mul_lo_u32 v26, v19, v23
	v_mul_hi_u32 v27, v19, v23
	v_mul_hi_u32 v28, v20, v24
	v_mul_lo_u32 v24, v20, v24
	v_mul_hi_u32 v29, v20, v23
	v_mul_lo_u32 v23, v20, v23
	v_add_co_u32 v25, vcc_lo, v25, v26
	v_add_co_ci_u32_e32 v26, vcc_lo, 0, v27, vcc_lo
	s_delay_alu instid0(VALU_DEP_2) | instskip(NEXT) | instid1(VALU_DEP_2)
	v_add_co_u32 v24, vcc_lo, v25, v24
	v_add_co_ci_u32_e32 v24, vcc_lo, v26, v28, vcc_lo
	v_add_co_ci_u32_e32 v25, vcc_lo, 0, v29, vcc_lo
	s_delay_alu instid0(VALU_DEP_2) | instskip(NEXT) | instid1(VALU_DEP_2)
	v_add_co_u32 v23, vcc_lo, v24, v23
	v_add_co_ci_u32_e32 v24, vcc_lo, 0, v25, vcc_lo
	s_delay_alu instid0(VALU_DEP_2) | instskip(NEXT) | instid1(VALU_DEP_2)
	v_add_co_u32 v25, vcc_lo, v19, v23
	v_add_co_ci_u32_e32 v27, vcc_lo, v20, v24, vcc_lo
	s_delay_alu instid0(VALU_DEP_2) | instskip(SKIP_1) | instid1(VALU_DEP_3)
	v_mul_hi_u32 v28, v21, v25
	v_mad_u64_u32 v[23:24], null, v22, v25, 0
	v_mad_u64_u32 v[19:20], null, v21, v27, 0
	;; [unrolled: 1-line block ×3, first 2 shown]
	s_delay_alu instid0(VALU_DEP_2) | instskip(NEXT) | instid1(VALU_DEP_3)
	v_add_co_u32 v19, vcc_lo, v28, v19
	v_add_co_ci_u32_e32 v20, vcc_lo, 0, v20, vcc_lo
	s_delay_alu instid0(VALU_DEP_2) | instskip(NEXT) | instid1(VALU_DEP_2)
	v_add_co_u32 v19, vcc_lo, v19, v23
	v_add_co_ci_u32_e32 v19, vcc_lo, v20, v24, vcc_lo
	v_add_co_ci_u32_e32 v20, vcc_lo, 0, v26, vcc_lo
	s_delay_alu instid0(VALU_DEP_2) | instskip(NEXT) | instid1(VALU_DEP_2)
	v_add_co_u32 v23, vcc_lo, v19, v25
	v_add_co_ci_u32_e32 v24, vcc_lo, 0, v20, vcc_lo
	s_delay_alu instid0(VALU_DEP_2) | instskip(SKIP_1) | instid1(VALU_DEP_3)
	v_mul_lo_u32 v25, s39, v23
	v_mad_u64_u32 v[19:20], null, s38, v23, 0
	v_mul_lo_u32 v26, s38, v24
	s_delay_alu instid0(VALU_DEP_2) | instskip(NEXT) | instid1(VALU_DEP_2)
	v_sub_co_u32 v19, vcc_lo, v21, v19
	v_add3_u32 v20, v20, v26, v25
	s_delay_alu instid0(VALU_DEP_1) | instskip(NEXT) | instid1(VALU_DEP_1)
	v_sub_nc_u32_e32 v25, v22, v20
	v_subrev_co_ci_u32_e64 v21, s12, s39, v25, vcc_lo
	v_add_co_u32 v25, s12, v23, 2
	s_delay_alu instid0(VALU_DEP_1) | instskip(SKIP_3) | instid1(VALU_DEP_3)
	v_add_co_ci_u32_e64 v26, s12, 0, v24, s12
	v_sub_co_u32 v27, s12, v19, s38
	v_sub_co_ci_u32_e32 v20, vcc_lo, v22, v20, vcc_lo
	v_subrev_co_ci_u32_e64 v21, s12, 0, v21, s12
	v_cmp_le_u32_e32 vcc_lo, s38, v27
	s_delay_alu instid0(VALU_DEP_3) | instskip(SKIP_1) | instid1(VALU_DEP_4)
	v_cmp_eq_u32_e64 s12, s39, v20
	v_cndmask_b32_e64 v22, 0, -1, vcc_lo
	v_cmp_le_u32_e32 vcc_lo, s39, v21
	v_cndmask_b32_e64 v27, 0, -1, vcc_lo
	v_cmp_le_u32_e32 vcc_lo, s38, v19
	;; [unrolled: 2-line block ×3, first 2 shown]
	v_cndmask_b32_e64 v28, 0, -1, vcc_lo
	v_cmp_eq_u32_e32 vcc_lo, s39, v21
	s_delay_alu instid0(VALU_DEP_2) | instskip(SKIP_3) | instid1(VALU_DEP_3)
	v_cndmask_b32_e64 v19, v28, v19, s12
	v_cndmask_b32_e32 v21, v27, v22, vcc_lo
	v_add_co_u32 v22, vcc_lo, v23, 1
	v_add_co_ci_u32_e32 v27, vcc_lo, 0, v24, vcc_lo
	v_cmp_ne_u32_e32 vcc_lo, 0, v21
	s_delay_alu instid0(VALU_DEP_2) | instskip(SKIP_1) | instid1(VALU_DEP_2)
	v_dual_cndmask_b32 v20, v27, v26 :: v_dual_cndmask_b32 v21, v22, v25
	v_cmp_ne_u32_e32 vcc_lo, 0, v19
	v_dual_cndmask_b32 v20, v24, v20 :: v_dual_cndmask_b32 v19, v23, v21
                                        ; implicit-def: $vgpr21
.LBB10_61:
	s_and_not1_saveexec_b32 s12, s14
	s_cbranch_execz .LBB10_63
; %bb.62:
	v_cvt_f32_u32_e32 v19, s38
	s_sub_i32 s14, 0, s38
	s_delay_alu instid0(VALU_DEP_1) | instskip(SKIP_2) | instid1(VALU_DEP_1)
	v_rcp_iflag_f32_e32 v19, v19
	s_waitcnt_depctr 0xfff
	v_mul_f32_e32 v19, 0x4f7ffffe, v19
	v_cvt_u32_f32_e32 v19, v19
	s_delay_alu instid0(VALU_DEP_1) | instskip(NEXT) | instid1(VALU_DEP_1)
	v_mul_lo_u32 v20, s14, v19
	v_mul_hi_u32 v20, v19, v20
	s_delay_alu instid0(VALU_DEP_1) | instskip(NEXT) | instid1(VALU_DEP_1)
	v_add_nc_u32_e32 v19, v19, v20
	v_mul_hi_u32 v19, v21, v19
	s_delay_alu instid0(VALU_DEP_1) | instskip(NEXT) | instid1(VALU_DEP_1)
	v_mul_lo_u32 v20, v19, s38
	v_sub_nc_u32_e32 v20, v21, v20
	v_add_nc_u32_e32 v21, 1, v19
	s_delay_alu instid0(VALU_DEP_2) | instskip(SKIP_1) | instid1(VALU_DEP_2)
	v_subrev_nc_u32_e32 v22, s38, v20
	v_cmp_le_u32_e32 vcc_lo, s38, v20
	v_dual_cndmask_b32 v20, v20, v22 :: v_dual_cndmask_b32 v19, v19, v21
	s_delay_alu instid0(VALU_DEP_1) | instskip(NEXT) | instid1(VALU_DEP_2)
	v_cmp_le_u32_e32 vcc_lo, s38, v20
	v_dual_mov_b32 v20, 0 :: v_dual_add_nc_u32 v21, 1, v19
	s_delay_alu instid0(VALU_DEP_1)
	v_cndmask_b32_e32 v19, v19, v21, vcc_lo
.LBB10_63:
	s_or_b32 exec_lo, exec_lo, s12
.LBB10_64:
	s_delay_alu instid0(SALU_CYCLE_1) | instskip(SKIP_2) | instid1(VALU_DEP_2)
	s_or_b32 exec_lo, exec_lo, s13
	v_or_b32_e32 v44, 0xa00, v0
	v_dual_mov_b32 v21, v33 :: v_dual_mov_b32 v22, v34
	v_cmp_gt_u32_e64 s12, s49, v44
	s_delay_alu instid0(VALU_DEP_1)
	s_and_saveexec_b32 s14, s12
	s_cbranch_execz .LBB10_70
; %bb.65:
	v_add_co_u32 v23, s13, s36, v44
	s_delay_alu instid0(VALU_DEP_1) | instskip(SKIP_1) | instid1(VALU_DEP_2)
	v_add_co_ci_u32_e64 v24, null, s37, 0, s13
	v_mov_b32_e32 v21, 0
	v_or_b32_e32 v22, s39, v24
	s_delay_alu instid0(VALU_DEP_1) | instskip(SKIP_1) | instid1(SALU_CYCLE_1)
	v_cmp_ne_u64_e32 vcc_lo, 0, v[21:22]
                                        ; implicit-def: $vgpr21_vgpr22
	s_and_saveexec_b32 s13, vcc_lo
	s_xor_b32 s16, exec_lo, s13
	s_cbranch_execz .LBB10_67
; %bb.66:
	v_cvt_f32_u32_e32 v21, s38
	v_cvt_f32_u32_e32 v22, s39
	s_sub_u32 s13, 0, s38
	s_subb_u32 s17, 0, s39
	s_delay_alu instid0(VALU_DEP_1) | instskip(NEXT) | instid1(VALU_DEP_1)
	v_fmamk_f32 v21, v22, 0x4f800000, v21
	v_rcp_f32_e32 v21, v21
	s_waitcnt_depctr 0xfff
	v_mul_f32_e32 v21, 0x5f7ffffc, v21
	s_delay_alu instid0(VALU_DEP_1) | instskip(NEXT) | instid1(VALU_DEP_1)
	v_mul_f32_e32 v22, 0x2f800000, v21
	v_trunc_f32_e32 v22, v22
	s_delay_alu instid0(VALU_DEP_1) | instskip(SKIP_1) | instid1(VALU_DEP_2)
	v_fmamk_f32 v21, v22, 0xcf800000, v21
	v_cvt_u32_f32_e32 v22, v22
	v_cvt_u32_f32_e32 v21, v21
	s_delay_alu instid0(VALU_DEP_2) | instskip(NEXT) | instid1(VALU_DEP_2)
	v_mul_lo_u32 v25, s13, v22
	v_mul_hi_u32 v26, s13, v21
	v_mul_lo_u32 v27, s17, v21
	s_delay_alu instid0(VALU_DEP_2) | instskip(SKIP_1) | instid1(VALU_DEP_2)
	v_add_nc_u32_e32 v25, v26, v25
	v_mul_lo_u32 v26, s13, v21
	v_add_nc_u32_e32 v25, v25, v27
	s_delay_alu instid0(VALU_DEP_2) | instskip(NEXT) | instid1(VALU_DEP_2)
	v_mul_hi_u32 v27, v21, v26
	v_mul_lo_u32 v28, v21, v25
	v_mul_hi_u32 v29, v21, v25
	v_mul_hi_u32 v30, v22, v26
	v_mul_lo_u32 v26, v22, v26
	v_mul_hi_u32 v31, v22, v25
	v_mul_lo_u32 v25, v22, v25
	v_add_co_u32 v27, vcc_lo, v27, v28
	v_add_co_ci_u32_e32 v28, vcc_lo, 0, v29, vcc_lo
	s_delay_alu instid0(VALU_DEP_2) | instskip(NEXT) | instid1(VALU_DEP_2)
	v_add_co_u32 v26, vcc_lo, v27, v26
	v_add_co_ci_u32_e32 v26, vcc_lo, v28, v30, vcc_lo
	v_add_co_ci_u32_e32 v27, vcc_lo, 0, v31, vcc_lo
	s_delay_alu instid0(VALU_DEP_2) | instskip(NEXT) | instid1(VALU_DEP_2)
	v_add_co_u32 v25, vcc_lo, v26, v25
	v_add_co_ci_u32_e32 v26, vcc_lo, 0, v27, vcc_lo
	s_delay_alu instid0(VALU_DEP_2) | instskip(NEXT) | instid1(VALU_DEP_2)
	v_add_co_u32 v21, vcc_lo, v21, v25
	v_add_co_ci_u32_e32 v22, vcc_lo, v22, v26, vcc_lo
	s_delay_alu instid0(VALU_DEP_2) | instskip(SKIP_1) | instid1(VALU_DEP_3)
	v_mul_hi_u32 v25, s13, v21
	v_mul_lo_u32 v27, s17, v21
	v_mul_lo_u32 v26, s13, v22
	s_delay_alu instid0(VALU_DEP_1) | instskip(SKIP_1) | instid1(VALU_DEP_2)
	v_add_nc_u32_e32 v25, v25, v26
	v_mul_lo_u32 v26, s13, v21
	v_add_nc_u32_e32 v25, v25, v27
	s_delay_alu instid0(VALU_DEP_2) | instskip(NEXT) | instid1(VALU_DEP_2)
	v_mul_hi_u32 v27, v21, v26
	v_mul_lo_u32 v28, v21, v25
	v_mul_hi_u32 v29, v21, v25
	v_mul_hi_u32 v30, v22, v26
	v_mul_lo_u32 v26, v22, v26
	v_mul_hi_u32 v31, v22, v25
	v_mul_lo_u32 v25, v22, v25
	v_add_co_u32 v27, vcc_lo, v27, v28
	v_add_co_ci_u32_e32 v28, vcc_lo, 0, v29, vcc_lo
	s_delay_alu instid0(VALU_DEP_2) | instskip(NEXT) | instid1(VALU_DEP_2)
	v_add_co_u32 v26, vcc_lo, v27, v26
	v_add_co_ci_u32_e32 v26, vcc_lo, v28, v30, vcc_lo
	v_add_co_ci_u32_e32 v27, vcc_lo, 0, v31, vcc_lo
	s_delay_alu instid0(VALU_DEP_2) | instskip(NEXT) | instid1(VALU_DEP_2)
	v_add_co_u32 v25, vcc_lo, v26, v25
	v_add_co_ci_u32_e32 v26, vcc_lo, 0, v27, vcc_lo
	s_delay_alu instid0(VALU_DEP_2) | instskip(NEXT) | instid1(VALU_DEP_2)
	v_add_co_u32 v27, vcc_lo, v21, v25
	v_add_co_ci_u32_e32 v29, vcc_lo, v22, v26, vcc_lo
	s_delay_alu instid0(VALU_DEP_2) | instskip(SKIP_1) | instid1(VALU_DEP_3)
	v_mul_hi_u32 v30, v23, v27
	v_mad_u64_u32 v[25:26], null, v24, v27, 0
	v_mad_u64_u32 v[21:22], null, v23, v29, 0
	;; [unrolled: 1-line block ×3, first 2 shown]
	s_delay_alu instid0(VALU_DEP_2) | instskip(NEXT) | instid1(VALU_DEP_3)
	v_add_co_u32 v21, vcc_lo, v30, v21
	v_add_co_ci_u32_e32 v22, vcc_lo, 0, v22, vcc_lo
	s_delay_alu instid0(VALU_DEP_2) | instskip(NEXT) | instid1(VALU_DEP_2)
	v_add_co_u32 v21, vcc_lo, v21, v25
	v_add_co_ci_u32_e32 v21, vcc_lo, v22, v26, vcc_lo
	v_add_co_ci_u32_e32 v22, vcc_lo, 0, v28, vcc_lo
	s_delay_alu instid0(VALU_DEP_2) | instskip(NEXT) | instid1(VALU_DEP_2)
	v_add_co_u32 v25, vcc_lo, v21, v27
	v_add_co_ci_u32_e32 v26, vcc_lo, 0, v22, vcc_lo
	s_delay_alu instid0(VALU_DEP_2) | instskip(SKIP_1) | instid1(VALU_DEP_3)
	v_mul_lo_u32 v27, s39, v25
	v_mad_u64_u32 v[21:22], null, s38, v25, 0
	v_mul_lo_u32 v28, s38, v26
	s_delay_alu instid0(VALU_DEP_2) | instskip(NEXT) | instid1(VALU_DEP_2)
	v_sub_co_u32 v21, vcc_lo, v23, v21
	v_add3_u32 v22, v22, v28, v27
	s_delay_alu instid0(VALU_DEP_1) | instskip(NEXT) | instid1(VALU_DEP_1)
	v_sub_nc_u32_e32 v27, v24, v22
	v_subrev_co_ci_u32_e64 v23, s13, s39, v27, vcc_lo
	v_add_co_u32 v27, s13, v25, 2
	s_delay_alu instid0(VALU_DEP_1) | instskip(SKIP_3) | instid1(VALU_DEP_3)
	v_add_co_ci_u32_e64 v28, s13, 0, v26, s13
	v_sub_co_u32 v29, s13, v21, s38
	v_sub_co_ci_u32_e32 v22, vcc_lo, v24, v22, vcc_lo
	v_subrev_co_ci_u32_e64 v23, s13, 0, v23, s13
	v_cmp_le_u32_e32 vcc_lo, s38, v29
	s_delay_alu instid0(VALU_DEP_3) | instskip(SKIP_1) | instid1(VALU_DEP_4)
	v_cmp_eq_u32_e64 s13, s39, v22
	v_cndmask_b32_e64 v24, 0, -1, vcc_lo
	v_cmp_le_u32_e32 vcc_lo, s39, v23
	v_cndmask_b32_e64 v29, 0, -1, vcc_lo
	v_cmp_le_u32_e32 vcc_lo, s38, v21
	;; [unrolled: 2-line block ×3, first 2 shown]
	v_cndmask_b32_e64 v30, 0, -1, vcc_lo
	v_cmp_eq_u32_e32 vcc_lo, s39, v23
	s_delay_alu instid0(VALU_DEP_2) | instskip(SKIP_3) | instid1(VALU_DEP_3)
	v_cndmask_b32_e64 v21, v30, v21, s13
	v_cndmask_b32_e32 v23, v29, v24, vcc_lo
	v_add_co_u32 v24, vcc_lo, v25, 1
	v_add_co_ci_u32_e32 v29, vcc_lo, 0, v26, vcc_lo
	v_cmp_ne_u32_e32 vcc_lo, 0, v23
	s_delay_alu instid0(VALU_DEP_2) | instskip(SKIP_1) | instid1(VALU_DEP_2)
	v_dual_cndmask_b32 v22, v29, v28 :: v_dual_cndmask_b32 v23, v24, v27
	v_cmp_ne_u32_e32 vcc_lo, 0, v21
	v_dual_cndmask_b32 v22, v26, v22 :: v_dual_cndmask_b32 v21, v25, v23
                                        ; implicit-def: $vgpr23
.LBB10_67:
	s_and_not1_saveexec_b32 s13, s16
	s_cbranch_execz .LBB10_69
; %bb.68:
	v_cvt_f32_u32_e32 v21, s38
	s_sub_i32 s16, 0, s38
	s_delay_alu instid0(VALU_DEP_1) | instskip(SKIP_2) | instid1(VALU_DEP_1)
	v_rcp_iflag_f32_e32 v21, v21
	s_waitcnt_depctr 0xfff
	v_mul_f32_e32 v21, 0x4f7ffffe, v21
	v_cvt_u32_f32_e32 v21, v21
	s_delay_alu instid0(VALU_DEP_1) | instskip(NEXT) | instid1(VALU_DEP_1)
	v_mul_lo_u32 v22, s16, v21
	v_mul_hi_u32 v22, v21, v22
	s_delay_alu instid0(VALU_DEP_1) | instskip(NEXT) | instid1(VALU_DEP_1)
	v_add_nc_u32_e32 v21, v21, v22
	v_mul_hi_u32 v21, v23, v21
	s_delay_alu instid0(VALU_DEP_1) | instskip(NEXT) | instid1(VALU_DEP_1)
	v_mul_lo_u32 v22, v21, s38
	v_sub_nc_u32_e32 v22, v23, v22
	v_add_nc_u32_e32 v23, 1, v21
	s_delay_alu instid0(VALU_DEP_2) | instskip(SKIP_1) | instid1(VALU_DEP_2)
	v_subrev_nc_u32_e32 v24, s38, v22
	v_cmp_le_u32_e32 vcc_lo, s38, v22
	v_dual_cndmask_b32 v22, v22, v24 :: v_dual_cndmask_b32 v21, v21, v23
	s_delay_alu instid0(VALU_DEP_1) | instskip(NEXT) | instid1(VALU_DEP_2)
	v_cmp_le_u32_e32 vcc_lo, s38, v22
	v_dual_mov_b32 v22, 0 :: v_dual_add_nc_u32 v23, 1, v21
	s_delay_alu instid0(VALU_DEP_1)
	v_cndmask_b32_e32 v21, v21, v23, vcc_lo
.LBB10_69:
	s_or_b32 exec_lo, exec_lo, s13
.LBB10_70:
	s_delay_alu instid0(SALU_CYCLE_1) | instskip(SKIP_2) | instid1(VALU_DEP_2)
	s_or_b32 exec_lo, exec_lo, s14
	v_or_b32_e32 v45, 0xb00, v0
	v_dual_mov_b32 v23, v33 :: v_dual_mov_b32 v24, v34
	v_cmp_gt_u32_e64 s13, s49, v45
	s_delay_alu instid0(VALU_DEP_1)
	s_and_saveexec_b32 s16, s13
	s_cbranch_execz .LBB10_76
; %bb.71:
	v_add_co_u32 v25, s14, s36, v45
	s_delay_alu instid0(VALU_DEP_1) | instskip(SKIP_1) | instid1(VALU_DEP_2)
	v_add_co_ci_u32_e64 v26, null, s37, 0, s14
	v_mov_b32_e32 v23, 0
	v_or_b32_e32 v24, s39, v26
	s_delay_alu instid0(VALU_DEP_1) | instskip(SKIP_1) | instid1(SALU_CYCLE_1)
	v_cmp_ne_u64_e32 vcc_lo, 0, v[23:24]
                                        ; implicit-def: $vgpr23_vgpr24
	s_and_saveexec_b32 s14, vcc_lo
	s_xor_b32 s17, exec_lo, s14
	s_cbranch_execz .LBB10_73
; %bb.72:
	v_cvt_f32_u32_e32 v23, s38
	v_cvt_f32_u32_e32 v24, s39
	s_sub_u32 s14, 0, s38
	s_subb_u32 s18, 0, s39
	s_delay_alu instid0(VALU_DEP_1) | instskip(NEXT) | instid1(VALU_DEP_1)
	v_fmamk_f32 v23, v24, 0x4f800000, v23
	v_rcp_f32_e32 v23, v23
	s_waitcnt_depctr 0xfff
	v_mul_f32_e32 v23, 0x5f7ffffc, v23
	s_delay_alu instid0(VALU_DEP_1) | instskip(NEXT) | instid1(VALU_DEP_1)
	v_mul_f32_e32 v24, 0x2f800000, v23
	v_trunc_f32_e32 v24, v24
	s_delay_alu instid0(VALU_DEP_1) | instskip(SKIP_1) | instid1(VALU_DEP_2)
	v_fmamk_f32 v23, v24, 0xcf800000, v23
	v_cvt_u32_f32_e32 v24, v24
	v_cvt_u32_f32_e32 v23, v23
	s_delay_alu instid0(VALU_DEP_2) | instskip(NEXT) | instid1(VALU_DEP_2)
	v_mul_lo_u32 v27, s14, v24
	v_mul_hi_u32 v28, s14, v23
	v_mul_lo_u32 v29, s18, v23
	s_delay_alu instid0(VALU_DEP_2) | instskip(SKIP_1) | instid1(VALU_DEP_2)
	v_add_nc_u32_e32 v27, v28, v27
	v_mul_lo_u32 v28, s14, v23
	v_add_nc_u32_e32 v27, v27, v29
	s_delay_alu instid0(VALU_DEP_2) | instskip(NEXT) | instid1(VALU_DEP_2)
	v_mul_hi_u32 v29, v23, v28
	v_mul_lo_u32 v30, v23, v27
	v_mul_hi_u32 v31, v23, v27
	v_mul_hi_u32 v32, v24, v28
	v_mul_lo_u32 v28, v24, v28
	v_mul_hi_u32 v46, v24, v27
	v_mul_lo_u32 v27, v24, v27
	v_add_co_u32 v29, vcc_lo, v29, v30
	v_add_co_ci_u32_e32 v30, vcc_lo, 0, v31, vcc_lo
	s_delay_alu instid0(VALU_DEP_2) | instskip(NEXT) | instid1(VALU_DEP_2)
	v_add_co_u32 v28, vcc_lo, v29, v28
	v_add_co_ci_u32_e32 v28, vcc_lo, v30, v32, vcc_lo
	v_add_co_ci_u32_e32 v29, vcc_lo, 0, v46, vcc_lo
	s_delay_alu instid0(VALU_DEP_2) | instskip(NEXT) | instid1(VALU_DEP_2)
	v_add_co_u32 v27, vcc_lo, v28, v27
	v_add_co_ci_u32_e32 v28, vcc_lo, 0, v29, vcc_lo
	s_delay_alu instid0(VALU_DEP_2) | instskip(NEXT) | instid1(VALU_DEP_2)
	v_add_co_u32 v23, vcc_lo, v23, v27
	v_add_co_ci_u32_e32 v24, vcc_lo, v24, v28, vcc_lo
	s_delay_alu instid0(VALU_DEP_2) | instskip(SKIP_1) | instid1(VALU_DEP_3)
	v_mul_hi_u32 v27, s14, v23
	v_mul_lo_u32 v29, s18, v23
	v_mul_lo_u32 v28, s14, v24
	s_delay_alu instid0(VALU_DEP_1) | instskip(SKIP_1) | instid1(VALU_DEP_2)
	v_add_nc_u32_e32 v27, v27, v28
	v_mul_lo_u32 v28, s14, v23
	v_add_nc_u32_e32 v27, v27, v29
	s_delay_alu instid0(VALU_DEP_2) | instskip(NEXT) | instid1(VALU_DEP_2)
	v_mul_hi_u32 v29, v23, v28
	v_mul_lo_u32 v30, v23, v27
	v_mul_hi_u32 v31, v23, v27
	v_mul_hi_u32 v32, v24, v28
	v_mul_lo_u32 v28, v24, v28
	v_mul_hi_u32 v46, v24, v27
	v_mul_lo_u32 v27, v24, v27
	v_add_co_u32 v29, vcc_lo, v29, v30
	v_add_co_ci_u32_e32 v30, vcc_lo, 0, v31, vcc_lo
	s_delay_alu instid0(VALU_DEP_2) | instskip(NEXT) | instid1(VALU_DEP_2)
	v_add_co_u32 v28, vcc_lo, v29, v28
	v_add_co_ci_u32_e32 v28, vcc_lo, v30, v32, vcc_lo
	v_add_co_ci_u32_e32 v29, vcc_lo, 0, v46, vcc_lo
	s_delay_alu instid0(VALU_DEP_2) | instskip(NEXT) | instid1(VALU_DEP_2)
	v_add_co_u32 v27, vcc_lo, v28, v27
	v_add_co_ci_u32_e32 v28, vcc_lo, 0, v29, vcc_lo
	s_delay_alu instid0(VALU_DEP_2) | instskip(NEXT) | instid1(VALU_DEP_2)
	v_add_co_u32 v29, vcc_lo, v23, v27
	v_add_co_ci_u32_e32 v31, vcc_lo, v24, v28, vcc_lo
	s_delay_alu instid0(VALU_DEP_2) | instskip(SKIP_1) | instid1(VALU_DEP_3)
	v_mul_hi_u32 v32, v25, v29
	v_mad_u64_u32 v[27:28], null, v26, v29, 0
	v_mad_u64_u32 v[23:24], null, v25, v31, 0
	;; [unrolled: 1-line block ×3, first 2 shown]
	s_delay_alu instid0(VALU_DEP_2) | instskip(NEXT) | instid1(VALU_DEP_3)
	v_add_co_u32 v23, vcc_lo, v32, v23
	v_add_co_ci_u32_e32 v24, vcc_lo, 0, v24, vcc_lo
	s_delay_alu instid0(VALU_DEP_2) | instskip(NEXT) | instid1(VALU_DEP_2)
	v_add_co_u32 v23, vcc_lo, v23, v27
	v_add_co_ci_u32_e32 v23, vcc_lo, v24, v28, vcc_lo
	v_add_co_ci_u32_e32 v24, vcc_lo, 0, v30, vcc_lo
	s_delay_alu instid0(VALU_DEP_2) | instskip(NEXT) | instid1(VALU_DEP_2)
	v_add_co_u32 v27, vcc_lo, v23, v29
	v_add_co_ci_u32_e32 v28, vcc_lo, 0, v24, vcc_lo
	s_delay_alu instid0(VALU_DEP_2) | instskip(SKIP_1) | instid1(VALU_DEP_3)
	v_mul_lo_u32 v29, s39, v27
	v_mad_u64_u32 v[23:24], null, s38, v27, 0
	v_mul_lo_u32 v30, s38, v28
	s_delay_alu instid0(VALU_DEP_2) | instskip(NEXT) | instid1(VALU_DEP_2)
	v_sub_co_u32 v23, vcc_lo, v25, v23
	v_add3_u32 v24, v24, v30, v29
	s_delay_alu instid0(VALU_DEP_1) | instskip(NEXT) | instid1(VALU_DEP_1)
	v_sub_nc_u32_e32 v29, v26, v24
	v_subrev_co_ci_u32_e64 v25, s14, s39, v29, vcc_lo
	v_add_co_u32 v29, s14, v27, 2
	s_delay_alu instid0(VALU_DEP_1) | instskip(SKIP_3) | instid1(VALU_DEP_3)
	v_add_co_ci_u32_e64 v30, s14, 0, v28, s14
	v_sub_co_u32 v31, s14, v23, s38
	v_sub_co_ci_u32_e32 v24, vcc_lo, v26, v24, vcc_lo
	v_subrev_co_ci_u32_e64 v25, s14, 0, v25, s14
	v_cmp_le_u32_e32 vcc_lo, s38, v31
	s_delay_alu instid0(VALU_DEP_3) | instskip(SKIP_1) | instid1(VALU_DEP_4)
	v_cmp_eq_u32_e64 s14, s39, v24
	v_cndmask_b32_e64 v26, 0, -1, vcc_lo
	v_cmp_le_u32_e32 vcc_lo, s39, v25
	v_cndmask_b32_e64 v31, 0, -1, vcc_lo
	v_cmp_le_u32_e32 vcc_lo, s38, v23
	;; [unrolled: 2-line block ×3, first 2 shown]
	v_cndmask_b32_e64 v32, 0, -1, vcc_lo
	v_cmp_eq_u32_e32 vcc_lo, s39, v25
	s_delay_alu instid0(VALU_DEP_2) | instskip(SKIP_3) | instid1(VALU_DEP_3)
	v_cndmask_b32_e64 v23, v32, v23, s14
	v_cndmask_b32_e32 v25, v31, v26, vcc_lo
	v_add_co_u32 v26, vcc_lo, v27, 1
	v_add_co_ci_u32_e32 v31, vcc_lo, 0, v28, vcc_lo
	v_cmp_ne_u32_e32 vcc_lo, 0, v25
	s_delay_alu instid0(VALU_DEP_2) | instskip(SKIP_1) | instid1(VALU_DEP_2)
	v_dual_cndmask_b32 v24, v31, v30 :: v_dual_cndmask_b32 v25, v26, v29
	v_cmp_ne_u32_e32 vcc_lo, 0, v23
	v_dual_cndmask_b32 v24, v28, v24 :: v_dual_cndmask_b32 v23, v27, v25
                                        ; implicit-def: $vgpr25
.LBB10_73:
	s_and_not1_saveexec_b32 s14, s17
	s_cbranch_execz .LBB10_75
; %bb.74:
	v_cvt_f32_u32_e32 v23, s38
	s_sub_i32 s17, 0, s38
	s_delay_alu instid0(VALU_DEP_1) | instskip(SKIP_2) | instid1(VALU_DEP_1)
	v_rcp_iflag_f32_e32 v23, v23
	s_waitcnt_depctr 0xfff
	v_mul_f32_e32 v23, 0x4f7ffffe, v23
	v_cvt_u32_f32_e32 v23, v23
	s_delay_alu instid0(VALU_DEP_1) | instskip(NEXT) | instid1(VALU_DEP_1)
	v_mul_lo_u32 v24, s17, v23
	v_mul_hi_u32 v24, v23, v24
	s_delay_alu instid0(VALU_DEP_1) | instskip(NEXT) | instid1(VALU_DEP_1)
	v_add_nc_u32_e32 v23, v23, v24
	v_mul_hi_u32 v23, v25, v23
	s_delay_alu instid0(VALU_DEP_1) | instskip(NEXT) | instid1(VALU_DEP_1)
	v_mul_lo_u32 v24, v23, s38
	v_sub_nc_u32_e32 v24, v25, v24
	v_add_nc_u32_e32 v25, 1, v23
	s_delay_alu instid0(VALU_DEP_2) | instskip(SKIP_1) | instid1(VALU_DEP_2)
	v_subrev_nc_u32_e32 v26, s38, v24
	v_cmp_le_u32_e32 vcc_lo, s38, v24
	v_dual_cndmask_b32 v24, v24, v26 :: v_dual_cndmask_b32 v23, v23, v25
	s_delay_alu instid0(VALU_DEP_1) | instskip(NEXT) | instid1(VALU_DEP_2)
	v_cmp_le_u32_e32 vcc_lo, s38, v24
	v_dual_mov_b32 v24, 0 :: v_dual_add_nc_u32 v25, 1, v23
	s_delay_alu instid0(VALU_DEP_1)
	v_cndmask_b32_e32 v23, v23, v25, vcc_lo
.LBB10_75:
	s_or_b32 exec_lo, exec_lo, s14
.LBB10_76:
	s_delay_alu instid0(SALU_CYCLE_1) | instskip(SKIP_2) | instid1(VALU_DEP_2)
	s_or_b32 exec_lo, exec_lo, s16
	v_or_b32_e32 v46, 0xc00, v0
	v_dual_mov_b32 v25, v33 :: v_dual_mov_b32 v26, v34
	v_cmp_gt_u32_e64 s14, s49, v46
	s_delay_alu instid0(VALU_DEP_1)
	s_and_saveexec_b32 s17, s14
	s_cbranch_execz .LBB10_82
; %bb.77:
	v_add_co_u32 v27, s16, s36, v46
	s_delay_alu instid0(VALU_DEP_1) | instskip(SKIP_1) | instid1(VALU_DEP_2)
	v_add_co_ci_u32_e64 v28, null, s37, 0, s16
	v_mov_b32_e32 v25, 0
	v_or_b32_e32 v26, s39, v28
	s_delay_alu instid0(VALU_DEP_1) | instskip(SKIP_1) | instid1(SALU_CYCLE_1)
	v_cmp_ne_u64_e32 vcc_lo, 0, v[25:26]
                                        ; implicit-def: $vgpr25_vgpr26
	s_and_saveexec_b32 s16, vcc_lo
	s_xor_b32 s18, exec_lo, s16
	s_cbranch_execz .LBB10_79
; %bb.78:
	v_cvt_f32_u32_e32 v25, s38
	v_cvt_f32_u32_e32 v26, s39
	s_sub_u32 s16, 0, s38
	s_subb_u32 s19, 0, s39
	s_delay_alu instid0(VALU_DEP_1) | instskip(NEXT) | instid1(VALU_DEP_1)
	v_fmamk_f32 v25, v26, 0x4f800000, v25
	v_rcp_f32_e32 v25, v25
	s_waitcnt_depctr 0xfff
	v_mul_f32_e32 v25, 0x5f7ffffc, v25
	s_delay_alu instid0(VALU_DEP_1) | instskip(NEXT) | instid1(VALU_DEP_1)
	v_mul_f32_e32 v26, 0x2f800000, v25
	v_trunc_f32_e32 v26, v26
	s_delay_alu instid0(VALU_DEP_1) | instskip(SKIP_1) | instid1(VALU_DEP_2)
	v_fmamk_f32 v25, v26, 0xcf800000, v25
	v_cvt_u32_f32_e32 v26, v26
	v_cvt_u32_f32_e32 v25, v25
	s_delay_alu instid0(VALU_DEP_2) | instskip(NEXT) | instid1(VALU_DEP_2)
	v_mul_lo_u32 v29, s16, v26
	v_mul_hi_u32 v30, s16, v25
	v_mul_lo_u32 v31, s19, v25
	s_delay_alu instid0(VALU_DEP_2) | instskip(SKIP_1) | instid1(VALU_DEP_2)
	v_add_nc_u32_e32 v29, v30, v29
	v_mul_lo_u32 v30, s16, v25
	v_add_nc_u32_e32 v29, v29, v31
	s_delay_alu instid0(VALU_DEP_2) | instskip(NEXT) | instid1(VALU_DEP_2)
	v_mul_hi_u32 v31, v25, v30
	v_mul_lo_u32 v32, v25, v29
	v_mul_hi_u32 v47, v25, v29
	v_mul_hi_u32 v48, v26, v30
	v_mul_lo_u32 v30, v26, v30
	v_mul_hi_u32 v49, v26, v29
	v_mul_lo_u32 v29, v26, v29
	v_add_co_u32 v31, vcc_lo, v31, v32
	v_add_co_ci_u32_e32 v32, vcc_lo, 0, v47, vcc_lo
	s_delay_alu instid0(VALU_DEP_2) | instskip(NEXT) | instid1(VALU_DEP_2)
	v_add_co_u32 v30, vcc_lo, v31, v30
	v_add_co_ci_u32_e32 v30, vcc_lo, v32, v48, vcc_lo
	v_add_co_ci_u32_e32 v31, vcc_lo, 0, v49, vcc_lo
	s_delay_alu instid0(VALU_DEP_2) | instskip(NEXT) | instid1(VALU_DEP_2)
	v_add_co_u32 v29, vcc_lo, v30, v29
	v_add_co_ci_u32_e32 v30, vcc_lo, 0, v31, vcc_lo
	s_delay_alu instid0(VALU_DEP_2) | instskip(NEXT) | instid1(VALU_DEP_2)
	v_add_co_u32 v25, vcc_lo, v25, v29
	v_add_co_ci_u32_e32 v26, vcc_lo, v26, v30, vcc_lo
	s_delay_alu instid0(VALU_DEP_2) | instskip(SKIP_1) | instid1(VALU_DEP_3)
	v_mul_hi_u32 v29, s16, v25
	v_mul_lo_u32 v31, s19, v25
	v_mul_lo_u32 v30, s16, v26
	s_delay_alu instid0(VALU_DEP_1) | instskip(SKIP_1) | instid1(VALU_DEP_2)
	v_add_nc_u32_e32 v29, v29, v30
	v_mul_lo_u32 v30, s16, v25
	v_add_nc_u32_e32 v29, v29, v31
	s_delay_alu instid0(VALU_DEP_2) | instskip(NEXT) | instid1(VALU_DEP_2)
	v_mul_hi_u32 v31, v25, v30
	v_mul_lo_u32 v32, v25, v29
	v_mul_hi_u32 v47, v25, v29
	v_mul_hi_u32 v48, v26, v30
	v_mul_lo_u32 v30, v26, v30
	v_mul_hi_u32 v49, v26, v29
	v_mul_lo_u32 v29, v26, v29
	v_add_co_u32 v31, vcc_lo, v31, v32
	v_add_co_ci_u32_e32 v32, vcc_lo, 0, v47, vcc_lo
	s_delay_alu instid0(VALU_DEP_2) | instskip(NEXT) | instid1(VALU_DEP_2)
	v_add_co_u32 v30, vcc_lo, v31, v30
	v_add_co_ci_u32_e32 v30, vcc_lo, v32, v48, vcc_lo
	v_add_co_ci_u32_e32 v31, vcc_lo, 0, v49, vcc_lo
	s_delay_alu instid0(VALU_DEP_2) | instskip(NEXT) | instid1(VALU_DEP_2)
	v_add_co_u32 v29, vcc_lo, v30, v29
	v_add_co_ci_u32_e32 v30, vcc_lo, 0, v31, vcc_lo
	s_delay_alu instid0(VALU_DEP_2) | instskip(NEXT) | instid1(VALU_DEP_2)
	v_add_co_u32 v31, vcc_lo, v25, v29
	v_add_co_ci_u32_e32 v47, vcc_lo, v26, v30, vcc_lo
	s_delay_alu instid0(VALU_DEP_2) | instskip(SKIP_1) | instid1(VALU_DEP_3)
	v_mul_hi_u32 v48, v27, v31
	v_mad_u64_u32 v[29:30], null, v28, v31, 0
	v_mad_u64_u32 v[25:26], null, v27, v47, 0
	v_mad_u64_u32 v[31:32], null, v28, v47, 0
	s_delay_alu instid0(VALU_DEP_2) | instskip(NEXT) | instid1(VALU_DEP_3)
	v_add_co_u32 v25, vcc_lo, v48, v25
	v_add_co_ci_u32_e32 v26, vcc_lo, 0, v26, vcc_lo
	s_delay_alu instid0(VALU_DEP_2) | instskip(NEXT) | instid1(VALU_DEP_2)
	v_add_co_u32 v25, vcc_lo, v25, v29
	v_add_co_ci_u32_e32 v25, vcc_lo, v26, v30, vcc_lo
	v_add_co_ci_u32_e32 v26, vcc_lo, 0, v32, vcc_lo
	s_delay_alu instid0(VALU_DEP_2) | instskip(NEXT) | instid1(VALU_DEP_2)
	v_add_co_u32 v29, vcc_lo, v25, v31
	v_add_co_ci_u32_e32 v30, vcc_lo, 0, v26, vcc_lo
	s_delay_alu instid0(VALU_DEP_2) | instskip(SKIP_1) | instid1(VALU_DEP_3)
	v_mul_lo_u32 v31, s39, v29
	v_mad_u64_u32 v[25:26], null, s38, v29, 0
	v_mul_lo_u32 v32, s38, v30
	s_delay_alu instid0(VALU_DEP_2) | instskip(NEXT) | instid1(VALU_DEP_2)
	v_sub_co_u32 v25, vcc_lo, v27, v25
	v_add3_u32 v26, v26, v32, v31
	s_delay_alu instid0(VALU_DEP_1) | instskip(NEXT) | instid1(VALU_DEP_1)
	v_sub_nc_u32_e32 v31, v28, v26
	v_subrev_co_ci_u32_e64 v27, s16, s39, v31, vcc_lo
	v_add_co_u32 v31, s16, v29, 2
	s_delay_alu instid0(VALU_DEP_1) | instskip(SKIP_3) | instid1(VALU_DEP_3)
	v_add_co_ci_u32_e64 v32, s16, 0, v30, s16
	v_sub_co_u32 v47, s16, v25, s38
	v_sub_co_ci_u32_e32 v26, vcc_lo, v28, v26, vcc_lo
	v_subrev_co_ci_u32_e64 v27, s16, 0, v27, s16
	v_cmp_le_u32_e32 vcc_lo, s38, v47
	s_delay_alu instid0(VALU_DEP_3) | instskip(SKIP_1) | instid1(VALU_DEP_4)
	v_cmp_eq_u32_e64 s16, s39, v26
	v_cndmask_b32_e64 v28, 0, -1, vcc_lo
	v_cmp_le_u32_e32 vcc_lo, s39, v27
	v_cndmask_b32_e64 v47, 0, -1, vcc_lo
	v_cmp_le_u32_e32 vcc_lo, s38, v25
	;; [unrolled: 2-line block ×3, first 2 shown]
	v_cndmask_b32_e64 v48, 0, -1, vcc_lo
	v_cmp_eq_u32_e32 vcc_lo, s39, v27
	s_delay_alu instid0(VALU_DEP_2) | instskip(SKIP_3) | instid1(VALU_DEP_3)
	v_cndmask_b32_e64 v25, v48, v25, s16
	v_cndmask_b32_e32 v27, v47, v28, vcc_lo
	v_add_co_u32 v28, vcc_lo, v29, 1
	v_add_co_ci_u32_e32 v47, vcc_lo, 0, v30, vcc_lo
	v_cmp_ne_u32_e32 vcc_lo, 0, v27
	s_delay_alu instid0(VALU_DEP_2) | instskip(SKIP_1) | instid1(VALU_DEP_2)
	v_dual_cndmask_b32 v26, v47, v32 :: v_dual_cndmask_b32 v27, v28, v31
	v_cmp_ne_u32_e32 vcc_lo, 0, v25
	v_dual_cndmask_b32 v26, v30, v26 :: v_dual_cndmask_b32 v25, v29, v27
                                        ; implicit-def: $vgpr27
.LBB10_79:
	s_and_not1_saveexec_b32 s16, s18
	s_cbranch_execz .LBB10_81
; %bb.80:
	v_cvt_f32_u32_e32 v25, s38
	s_sub_i32 s18, 0, s38
	s_delay_alu instid0(VALU_DEP_1) | instskip(SKIP_2) | instid1(VALU_DEP_1)
	v_rcp_iflag_f32_e32 v25, v25
	s_waitcnt_depctr 0xfff
	v_mul_f32_e32 v25, 0x4f7ffffe, v25
	v_cvt_u32_f32_e32 v25, v25
	s_delay_alu instid0(VALU_DEP_1) | instskip(NEXT) | instid1(VALU_DEP_1)
	v_mul_lo_u32 v26, s18, v25
	v_mul_hi_u32 v26, v25, v26
	s_delay_alu instid0(VALU_DEP_1) | instskip(NEXT) | instid1(VALU_DEP_1)
	v_add_nc_u32_e32 v25, v25, v26
	v_mul_hi_u32 v25, v27, v25
	s_delay_alu instid0(VALU_DEP_1) | instskip(NEXT) | instid1(VALU_DEP_1)
	v_mul_lo_u32 v26, v25, s38
	v_sub_nc_u32_e32 v26, v27, v26
	v_add_nc_u32_e32 v27, 1, v25
	s_delay_alu instid0(VALU_DEP_2) | instskip(SKIP_1) | instid1(VALU_DEP_2)
	v_subrev_nc_u32_e32 v28, s38, v26
	v_cmp_le_u32_e32 vcc_lo, s38, v26
	v_dual_cndmask_b32 v26, v26, v28 :: v_dual_cndmask_b32 v25, v25, v27
	s_delay_alu instid0(VALU_DEP_1) | instskip(NEXT) | instid1(VALU_DEP_2)
	v_cmp_le_u32_e32 vcc_lo, s38, v26
	v_dual_mov_b32 v26, 0 :: v_dual_add_nc_u32 v27, 1, v25
	s_delay_alu instid0(VALU_DEP_1)
	v_cndmask_b32_e32 v25, v25, v27, vcc_lo
.LBB10_81:
	s_or_b32 exec_lo, exec_lo, s16
.LBB10_82:
	s_delay_alu instid0(SALU_CYCLE_1) | instskip(SKIP_2) | instid1(VALU_DEP_2)
	s_or_b32 exec_lo, exec_lo, s17
	v_or_b32_e32 v47, 0xd00, v0
	v_dual_mov_b32 v27, v33 :: v_dual_mov_b32 v28, v34
	v_cmp_gt_u32_e64 s16, s49, v47
	s_delay_alu instid0(VALU_DEP_1)
	s_and_saveexec_b32 s18, s16
	s_cbranch_execz .LBB10_88
; %bb.83:
	v_add_co_u32 v29, s17, s36, v47
	s_delay_alu instid0(VALU_DEP_1) | instskip(SKIP_1) | instid1(VALU_DEP_2)
	v_add_co_ci_u32_e64 v30, null, s37, 0, s17
	v_mov_b32_e32 v27, 0
	v_or_b32_e32 v28, s39, v30
	s_delay_alu instid0(VALU_DEP_1) | instskip(SKIP_1) | instid1(SALU_CYCLE_1)
	v_cmp_ne_u64_e32 vcc_lo, 0, v[27:28]
                                        ; implicit-def: $vgpr27_vgpr28
	s_and_saveexec_b32 s17, vcc_lo
	s_xor_b32 s19, exec_lo, s17
	s_cbranch_execz .LBB10_85
; %bb.84:
	v_cvt_f32_u32_e32 v27, s38
	v_cvt_f32_u32_e32 v28, s39
	s_sub_u32 s17, 0, s38
	s_subb_u32 s42, 0, s39
	s_delay_alu instid0(VALU_DEP_1) | instskip(NEXT) | instid1(VALU_DEP_1)
	v_fmamk_f32 v27, v28, 0x4f800000, v27
	v_rcp_f32_e32 v27, v27
	s_waitcnt_depctr 0xfff
	v_mul_f32_e32 v27, 0x5f7ffffc, v27
	s_delay_alu instid0(VALU_DEP_1) | instskip(NEXT) | instid1(VALU_DEP_1)
	v_mul_f32_e32 v28, 0x2f800000, v27
	v_trunc_f32_e32 v28, v28
	s_delay_alu instid0(VALU_DEP_1) | instskip(SKIP_1) | instid1(VALU_DEP_2)
	v_fmamk_f32 v27, v28, 0xcf800000, v27
	v_cvt_u32_f32_e32 v28, v28
	v_cvt_u32_f32_e32 v27, v27
	s_delay_alu instid0(VALU_DEP_2) | instskip(NEXT) | instid1(VALU_DEP_2)
	v_mul_lo_u32 v31, s17, v28
	v_mul_hi_u32 v32, s17, v27
	v_mul_lo_u32 v48, s42, v27
	s_delay_alu instid0(VALU_DEP_2) | instskip(SKIP_1) | instid1(VALU_DEP_2)
	v_add_nc_u32_e32 v31, v32, v31
	v_mul_lo_u32 v32, s17, v27
	v_add_nc_u32_e32 v31, v31, v48
	s_delay_alu instid0(VALU_DEP_2) | instskip(NEXT) | instid1(VALU_DEP_2)
	v_mul_hi_u32 v48, v27, v32
	v_mul_lo_u32 v49, v27, v31
	v_mul_hi_u32 v50, v27, v31
	v_mul_hi_u32 v51, v28, v32
	v_mul_lo_u32 v32, v28, v32
	v_mul_hi_u32 v52, v28, v31
	v_mul_lo_u32 v31, v28, v31
	v_add_co_u32 v48, vcc_lo, v48, v49
	v_add_co_ci_u32_e32 v49, vcc_lo, 0, v50, vcc_lo
	s_delay_alu instid0(VALU_DEP_2) | instskip(NEXT) | instid1(VALU_DEP_2)
	v_add_co_u32 v32, vcc_lo, v48, v32
	v_add_co_ci_u32_e32 v32, vcc_lo, v49, v51, vcc_lo
	v_add_co_ci_u32_e32 v48, vcc_lo, 0, v52, vcc_lo
	s_delay_alu instid0(VALU_DEP_2) | instskip(NEXT) | instid1(VALU_DEP_2)
	v_add_co_u32 v31, vcc_lo, v32, v31
	v_add_co_ci_u32_e32 v32, vcc_lo, 0, v48, vcc_lo
	s_delay_alu instid0(VALU_DEP_2) | instskip(NEXT) | instid1(VALU_DEP_2)
	v_add_co_u32 v27, vcc_lo, v27, v31
	v_add_co_ci_u32_e32 v28, vcc_lo, v28, v32, vcc_lo
	s_delay_alu instid0(VALU_DEP_2) | instskip(SKIP_1) | instid1(VALU_DEP_3)
	v_mul_hi_u32 v31, s17, v27
	v_mul_lo_u32 v48, s42, v27
	v_mul_lo_u32 v32, s17, v28
	s_delay_alu instid0(VALU_DEP_1) | instskip(SKIP_1) | instid1(VALU_DEP_2)
	v_add_nc_u32_e32 v31, v31, v32
	v_mul_lo_u32 v32, s17, v27
	v_add_nc_u32_e32 v31, v31, v48
	s_delay_alu instid0(VALU_DEP_2) | instskip(NEXT) | instid1(VALU_DEP_2)
	v_mul_hi_u32 v48, v27, v32
	v_mul_lo_u32 v49, v27, v31
	v_mul_hi_u32 v50, v27, v31
	v_mul_hi_u32 v51, v28, v32
	v_mul_lo_u32 v32, v28, v32
	v_mul_hi_u32 v52, v28, v31
	v_mul_lo_u32 v31, v28, v31
	v_add_co_u32 v48, vcc_lo, v48, v49
	v_add_co_ci_u32_e32 v49, vcc_lo, 0, v50, vcc_lo
	s_delay_alu instid0(VALU_DEP_2) | instskip(NEXT) | instid1(VALU_DEP_2)
	v_add_co_u32 v32, vcc_lo, v48, v32
	v_add_co_ci_u32_e32 v32, vcc_lo, v49, v51, vcc_lo
	v_add_co_ci_u32_e32 v48, vcc_lo, 0, v52, vcc_lo
	s_delay_alu instid0(VALU_DEP_2) | instskip(NEXT) | instid1(VALU_DEP_2)
	v_add_co_u32 v31, vcc_lo, v32, v31
	v_add_co_ci_u32_e32 v32, vcc_lo, 0, v48, vcc_lo
	s_delay_alu instid0(VALU_DEP_2) | instskip(NEXT) | instid1(VALU_DEP_2)
	v_add_co_u32 v48, vcc_lo, v27, v31
	v_add_co_ci_u32_e32 v50, vcc_lo, v28, v32, vcc_lo
	s_delay_alu instid0(VALU_DEP_2) | instskip(SKIP_1) | instid1(VALU_DEP_3)
	v_mul_hi_u32 v51, v29, v48
	v_mad_u64_u32 v[31:32], null, v30, v48, 0
	v_mad_u64_u32 v[27:28], null, v29, v50, 0
	;; [unrolled: 1-line block ×3, first 2 shown]
	s_delay_alu instid0(VALU_DEP_2) | instskip(NEXT) | instid1(VALU_DEP_3)
	v_add_co_u32 v27, vcc_lo, v51, v27
	v_add_co_ci_u32_e32 v28, vcc_lo, 0, v28, vcc_lo
	s_delay_alu instid0(VALU_DEP_2) | instskip(NEXT) | instid1(VALU_DEP_2)
	v_add_co_u32 v27, vcc_lo, v27, v31
	v_add_co_ci_u32_e32 v27, vcc_lo, v28, v32, vcc_lo
	v_add_co_ci_u32_e32 v28, vcc_lo, 0, v49, vcc_lo
	s_delay_alu instid0(VALU_DEP_2) | instskip(NEXT) | instid1(VALU_DEP_2)
	v_add_co_u32 v31, vcc_lo, v27, v48
	v_add_co_ci_u32_e32 v32, vcc_lo, 0, v28, vcc_lo
	s_delay_alu instid0(VALU_DEP_2) | instskip(SKIP_1) | instid1(VALU_DEP_3)
	v_mul_lo_u32 v48, s39, v31
	v_mad_u64_u32 v[27:28], null, s38, v31, 0
	v_mul_lo_u32 v49, s38, v32
	s_delay_alu instid0(VALU_DEP_2) | instskip(NEXT) | instid1(VALU_DEP_2)
	v_sub_co_u32 v27, vcc_lo, v29, v27
	v_add3_u32 v28, v28, v49, v48
	s_delay_alu instid0(VALU_DEP_1) | instskip(NEXT) | instid1(VALU_DEP_1)
	v_sub_nc_u32_e32 v48, v30, v28
	v_subrev_co_ci_u32_e64 v29, s17, s39, v48, vcc_lo
	v_add_co_u32 v48, s17, v31, 2
	s_delay_alu instid0(VALU_DEP_1) | instskip(SKIP_3) | instid1(VALU_DEP_3)
	v_add_co_ci_u32_e64 v49, s17, 0, v32, s17
	v_sub_co_u32 v50, s17, v27, s38
	v_sub_co_ci_u32_e32 v28, vcc_lo, v30, v28, vcc_lo
	v_subrev_co_ci_u32_e64 v29, s17, 0, v29, s17
	v_cmp_le_u32_e32 vcc_lo, s38, v50
	s_delay_alu instid0(VALU_DEP_3) | instskip(SKIP_1) | instid1(VALU_DEP_4)
	v_cmp_eq_u32_e64 s17, s39, v28
	v_cndmask_b32_e64 v30, 0, -1, vcc_lo
	v_cmp_le_u32_e32 vcc_lo, s39, v29
	v_cndmask_b32_e64 v50, 0, -1, vcc_lo
	v_cmp_le_u32_e32 vcc_lo, s38, v27
	;; [unrolled: 2-line block ×3, first 2 shown]
	v_cndmask_b32_e64 v51, 0, -1, vcc_lo
	v_cmp_eq_u32_e32 vcc_lo, s39, v29
	s_delay_alu instid0(VALU_DEP_2) | instskip(SKIP_3) | instid1(VALU_DEP_3)
	v_cndmask_b32_e64 v27, v51, v27, s17
	v_cndmask_b32_e32 v29, v50, v30, vcc_lo
	v_add_co_u32 v30, vcc_lo, v31, 1
	v_add_co_ci_u32_e32 v50, vcc_lo, 0, v32, vcc_lo
	v_cmp_ne_u32_e32 vcc_lo, 0, v29
	s_delay_alu instid0(VALU_DEP_2) | instskip(NEXT) | instid1(VALU_DEP_4)
	v_cndmask_b32_e32 v28, v50, v49, vcc_lo
	v_cndmask_b32_e32 v29, v30, v48, vcc_lo
	v_cmp_ne_u32_e32 vcc_lo, 0, v27
	s_delay_alu instid0(VALU_DEP_2)
	v_dual_cndmask_b32 v28, v32, v28 :: v_dual_cndmask_b32 v27, v31, v29
                                        ; implicit-def: $vgpr29
.LBB10_85:
	s_and_not1_saveexec_b32 s17, s19
	s_cbranch_execz .LBB10_87
; %bb.86:
	v_cvt_f32_u32_e32 v27, s38
	s_sub_i32 s19, 0, s38
	s_delay_alu instid0(VALU_DEP_1) | instskip(SKIP_2) | instid1(VALU_DEP_1)
	v_rcp_iflag_f32_e32 v27, v27
	s_waitcnt_depctr 0xfff
	v_mul_f32_e32 v27, 0x4f7ffffe, v27
	v_cvt_u32_f32_e32 v27, v27
	s_delay_alu instid0(VALU_DEP_1) | instskip(NEXT) | instid1(VALU_DEP_1)
	v_mul_lo_u32 v28, s19, v27
	v_mul_hi_u32 v28, v27, v28
	s_delay_alu instid0(VALU_DEP_1) | instskip(NEXT) | instid1(VALU_DEP_1)
	v_add_nc_u32_e32 v27, v27, v28
	v_mul_hi_u32 v27, v29, v27
	s_delay_alu instid0(VALU_DEP_1) | instskip(NEXT) | instid1(VALU_DEP_1)
	v_mul_lo_u32 v28, v27, s38
	v_sub_nc_u32_e32 v28, v29, v28
	v_add_nc_u32_e32 v29, 1, v27
	s_delay_alu instid0(VALU_DEP_2) | instskip(SKIP_1) | instid1(VALU_DEP_2)
	v_subrev_nc_u32_e32 v30, s38, v28
	v_cmp_le_u32_e32 vcc_lo, s38, v28
	v_dual_cndmask_b32 v28, v28, v30 :: v_dual_cndmask_b32 v27, v27, v29
	s_delay_alu instid0(VALU_DEP_1) | instskip(NEXT) | instid1(VALU_DEP_2)
	v_cmp_le_u32_e32 vcc_lo, s38, v28
	v_dual_mov_b32 v28, 0 :: v_dual_add_nc_u32 v29, 1, v27
	s_delay_alu instid0(VALU_DEP_1)
	v_cndmask_b32_e32 v27, v27, v29, vcc_lo
.LBB10_87:
	s_or_b32 exec_lo, exec_lo, s17
.LBB10_88:
	s_delay_alu instid0(SALU_CYCLE_1) | instskip(SKIP_2) | instid1(VALU_DEP_2)
	s_or_b32 exec_lo, exec_lo, s18
	v_or_b32_e32 v48, 0xe00, v0
	v_dual_mov_b32 v29, v33 :: v_dual_mov_b32 v30, v34
	v_cmp_gt_u32_e64 s17, s49, v48
	s_delay_alu instid0(VALU_DEP_1)
	s_and_saveexec_b32 s19, s17
	s_cbranch_execz .LBB10_94
; %bb.89:
	v_add_co_u32 v31, s18, s36, v48
	s_delay_alu instid0(VALU_DEP_1) | instskip(SKIP_1) | instid1(VALU_DEP_2)
	v_add_co_ci_u32_e64 v32, null, s37, 0, s18
	v_mov_b32_e32 v29, 0
	v_or_b32_e32 v30, s39, v32
	s_delay_alu instid0(VALU_DEP_1) | instskip(SKIP_1) | instid1(SALU_CYCLE_1)
	v_cmp_ne_u64_e32 vcc_lo, 0, v[29:30]
                                        ; implicit-def: $vgpr29_vgpr30
	s_and_saveexec_b32 s18, vcc_lo
	s_xor_b32 s42, exec_lo, s18
	s_cbranch_execz .LBB10_91
; %bb.90:
	v_cvt_f32_u32_e32 v29, s38
	v_cvt_f32_u32_e32 v30, s39
	s_sub_u32 s18, 0, s38
	s_subb_u32 s43, 0, s39
	s_delay_alu instid0(VALU_DEP_1) | instskip(NEXT) | instid1(VALU_DEP_1)
	v_fmamk_f32 v29, v30, 0x4f800000, v29
	v_rcp_f32_e32 v29, v29
	s_waitcnt_depctr 0xfff
	v_mul_f32_e32 v29, 0x5f7ffffc, v29
	s_delay_alu instid0(VALU_DEP_1) | instskip(NEXT) | instid1(VALU_DEP_1)
	v_mul_f32_e32 v30, 0x2f800000, v29
	v_trunc_f32_e32 v30, v30
	s_delay_alu instid0(VALU_DEP_1) | instskip(SKIP_1) | instid1(VALU_DEP_2)
	v_fmamk_f32 v29, v30, 0xcf800000, v29
	v_cvt_u32_f32_e32 v30, v30
	v_cvt_u32_f32_e32 v29, v29
	s_delay_alu instid0(VALU_DEP_2) | instskip(NEXT) | instid1(VALU_DEP_2)
	v_mul_lo_u32 v49, s18, v30
	v_mul_hi_u32 v50, s18, v29
	v_mul_lo_u32 v51, s43, v29
	s_delay_alu instid0(VALU_DEP_2) | instskip(SKIP_1) | instid1(VALU_DEP_2)
	v_add_nc_u32_e32 v49, v50, v49
	v_mul_lo_u32 v50, s18, v29
	v_add_nc_u32_e32 v49, v49, v51
	s_delay_alu instid0(VALU_DEP_2) | instskip(NEXT) | instid1(VALU_DEP_2)
	v_mul_hi_u32 v51, v29, v50
	v_mul_lo_u32 v52, v29, v49
	v_mul_hi_u32 v53, v29, v49
	v_mul_hi_u32 v54, v30, v50
	v_mul_lo_u32 v50, v30, v50
	v_mul_hi_u32 v55, v30, v49
	v_mul_lo_u32 v49, v30, v49
	v_add_co_u32 v51, vcc_lo, v51, v52
	v_add_co_ci_u32_e32 v52, vcc_lo, 0, v53, vcc_lo
	s_delay_alu instid0(VALU_DEP_2) | instskip(NEXT) | instid1(VALU_DEP_2)
	v_add_co_u32 v50, vcc_lo, v51, v50
	v_add_co_ci_u32_e32 v50, vcc_lo, v52, v54, vcc_lo
	v_add_co_ci_u32_e32 v51, vcc_lo, 0, v55, vcc_lo
	s_delay_alu instid0(VALU_DEP_2) | instskip(NEXT) | instid1(VALU_DEP_2)
	v_add_co_u32 v49, vcc_lo, v50, v49
	v_add_co_ci_u32_e32 v50, vcc_lo, 0, v51, vcc_lo
	s_delay_alu instid0(VALU_DEP_2) | instskip(NEXT) | instid1(VALU_DEP_2)
	v_add_co_u32 v29, vcc_lo, v29, v49
	v_add_co_ci_u32_e32 v30, vcc_lo, v30, v50, vcc_lo
	s_delay_alu instid0(VALU_DEP_2) | instskip(SKIP_1) | instid1(VALU_DEP_3)
	v_mul_hi_u32 v49, s18, v29
	v_mul_lo_u32 v51, s43, v29
	v_mul_lo_u32 v50, s18, v30
	s_delay_alu instid0(VALU_DEP_1) | instskip(SKIP_1) | instid1(VALU_DEP_2)
	v_add_nc_u32_e32 v49, v49, v50
	v_mul_lo_u32 v50, s18, v29
	v_add_nc_u32_e32 v49, v49, v51
	s_delay_alu instid0(VALU_DEP_2) | instskip(NEXT) | instid1(VALU_DEP_2)
	v_mul_hi_u32 v51, v29, v50
	v_mul_lo_u32 v52, v29, v49
	v_mul_hi_u32 v53, v29, v49
	v_mul_hi_u32 v54, v30, v50
	v_mul_lo_u32 v50, v30, v50
	v_mul_hi_u32 v55, v30, v49
	v_mul_lo_u32 v49, v30, v49
	v_add_co_u32 v51, vcc_lo, v51, v52
	v_add_co_ci_u32_e32 v52, vcc_lo, 0, v53, vcc_lo
	s_delay_alu instid0(VALU_DEP_2) | instskip(NEXT) | instid1(VALU_DEP_2)
	v_add_co_u32 v50, vcc_lo, v51, v50
	v_add_co_ci_u32_e32 v50, vcc_lo, v52, v54, vcc_lo
	v_add_co_ci_u32_e32 v51, vcc_lo, 0, v55, vcc_lo
	s_delay_alu instid0(VALU_DEP_2) | instskip(NEXT) | instid1(VALU_DEP_2)
	v_add_co_u32 v49, vcc_lo, v50, v49
	v_add_co_ci_u32_e32 v50, vcc_lo, 0, v51, vcc_lo
	s_delay_alu instid0(VALU_DEP_2) | instskip(NEXT) | instid1(VALU_DEP_2)
	v_add_co_u32 v51, vcc_lo, v29, v49
	v_add_co_ci_u32_e32 v53, vcc_lo, v30, v50, vcc_lo
	s_delay_alu instid0(VALU_DEP_2) | instskip(SKIP_1) | instid1(VALU_DEP_3)
	v_mul_hi_u32 v54, v31, v51
	v_mad_u64_u32 v[49:50], null, v32, v51, 0
	v_mad_u64_u32 v[29:30], null, v31, v53, 0
	;; [unrolled: 1-line block ×3, first 2 shown]
	s_delay_alu instid0(VALU_DEP_2) | instskip(NEXT) | instid1(VALU_DEP_3)
	v_add_co_u32 v29, vcc_lo, v54, v29
	v_add_co_ci_u32_e32 v30, vcc_lo, 0, v30, vcc_lo
	s_delay_alu instid0(VALU_DEP_2) | instskip(NEXT) | instid1(VALU_DEP_2)
	v_add_co_u32 v29, vcc_lo, v29, v49
	v_add_co_ci_u32_e32 v29, vcc_lo, v30, v50, vcc_lo
	v_add_co_ci_u32_e32 v30, vcc_lo, 0, v52, vcc_lo
	s_delay_alu instid0(VALU_DEP_2) | instskip(NEXT) | instid1(VALU_DEP_2)
	v_add_co_u32 v49, vcc_lo, v29, v51
	v_add_co_ci_u32_e32 v50, vcc_lo, 0, v30, vcc_lo
	s_delay_alu instid0(VALU_DEP_2) | instskip(SKIP_1) | instid1(VALU_DEP_3)
	v_mul_lo_u32 v51, s39, v49
	v_mad_u64_u32 v[29:30], null, s38, v49, 0
	v_mul_lo_u32 v52, s38, v50
	s_delay_alu instid0(VALU_DEP_2) | instskip(NEXT) | instid1(VALU_DEP_2)
	v_sub_co_u32 v29, vcc_lo, v31, v29
	v_add3_u32 v30, v30, v52, v51
	s_delay_alu instid0(VALU_DEP_1) | instskip(NEXT) | instid1(VALU_DEP_1)
	v_sub_nc_u32_e32 v51, v32, v30
	v_subrev_co_ci_u32_e64 v31, s18, s39, v51, vcc_lo
	v_add_co_u32 v51, s18, v49, 2
	s_delay_alu instid0(VALU_DEP_1) | instskip(SKIP_3) | instid1(VALU_DEP_3)
	v_add_co_ci_u32_e64 v52, s18, 0, v50, s18
	v_sub_co_u32 v53, s18, v29, s38
	v_sub_co_ci_u32_e32 v30, vcc_lo, v32, v30, vcc_lo
	v_subrev_co_ci_u32_e64 v31, s18, 0, v31, s18
	v_cmp_le_u32_e32 vcc_lo, s38, v53
	s_delay_alu instid0(VALU_DEP_3) | instskip(SKIP_1) | instid1(VALU_DEP_4)
	v_cmp_eq_u32_e64 s18, s39, v30
	v_cndmask_b32_e64 v32, 0, -1, vcc_lo
	v_cmp_le_u32_e32 vcc_lo, s39, v31
	v_cndmask_b32_e64 v53, 0, -1, vcc_lo
	v_cmp_le_u32_e32 vcc_lo, s38, v29
	;; [unrolled: 2-line block ×3, first 2 shown]
	v_cndmask_b32_e64 v54, 0, -1, vcc_lo
	v_cmp_eq_u32_e32 vcc_lo, s39, v31
	s_delay_alu instid0(VALU_DEP_2) | instskip(SKIP_3) | instid1(VALU_DEP_3)
	v_cndmask_b32_e64 v29, v54, v29, s18
	v_cndmask_b32_e32 v31, v53, v32, vcc_lo
	v_add_co_u32 v32, vcc_lo, v49, 1
	v_add_co_ci_u32_e32 v53, vcc_lo, 0, v50, vcc_lo
	v_cmp_ne_u32_e32 vcc_lo, 0, v31
	s_delay_alu instid0(VALU_DEP_2) | instskip(SKIP_1) | instid1(VALU_DEP_2)
	v_dual_cndmask_b32 v30, v53, v52 :: v_dual_cndmask_b32 v31, v32, v51
	v_cmp_ne_u32_e32 vcc_lo, 0, v29
	v_dual_cndmask_b32 v30, v50, v30 :: v_dual_cndmask_b32 v29, v49, v31
                                        ; implicit-def: $vgpr31
.LBB10_91:
	s_and_not1_saveexec_b32 s18, s42
	s_cbranch_execz .LBB10_93
; %bb.92:
	v_cvt_f32_u32_e32 v29, s38
	s_sub_i32 s42, 0, s38
	s_delay_alu instid0(VALU_DEP_1) | instskip(SKIP_2) | instid1(VALU_DEP_1)
	v_rcp_iflag_f32_e32 v29, v29
	s_waitcnt_depctr 0xfff
	v_mul_f32_e32 v29, 0x4f7ffffe, v29
	v_cvt_u32_f32_e32 v29, v29
	s_delay_alu instid0(VALU_DEP_1) | instskip(NEXT) | instid1(VALU_DEP_1)
	v_mul_lo_u32 v30, s42, v29
	v_mul_hi_u32 v30, v29, v30
	s_delay_alu instid0(VALU_DEP_1) | instskip(NEXT) | instid1(VALU_DEP_1)
	v_add_nc_u32_e32 v29, v29, v30
	v_mul_hi_u32 v29, v31, v29
	s_delay_alu instid0(VALU_DEP_1) | instskip(NEXT) | instid1(VALU_DEP_1)
	v_mul_lo_u32 v30, v29, s38
	v_sub_nc_u32_e32 v30, v31, v30
	v_add_nc_u32_e32 v31, 1, v29
	s_delay_alu instid0(VALU_DEP_2) | instskip(SKIP_1) | instid1(VALU_DEP_2)
	v_subrev_nc_u32_e32 v32, s38, v30
	v_cmp_le_u32_e32 vcc_lo, s38, v30
	v_dual_cndmask_b32 v30, v30, v32 :: v_dual_cndmask_b32 v29, v29, v31
	s_delay_alu instid0(VALU_DEP_1) | instskip(NEXT) | instid1(VALU_DEP_2)
	v_cmp_le_u32_e32 vcc_lo, s38, v30
	v_dual_mov_b32 v30, 0 :: v_dual_add_nc_u32 v31, 1, v29
	s_delay_alu instid0(VALU_DEP_1)
	v_cndmask_b32_e32 v29, v29, v31, vcc_lo
.LBB10_93:
	s_or_b32 exec_lo, exec_lo, s18
.LBB10_94:
	s_delay_alu instid0(SALU_CYCLE_1) | instskip(SKIP_2) | instid1(VALU_DEP_2)
	s_or_b32 exec_lo, exec_lo, s19
	v_or_b32_e32 v49, 0xf00, v0
	v_dual_mov_b32 v31, v33 :: v_dual_mov_b32 v32, v34
	v_cmp_gt_u32_e64 s18, s49, v49
	s_delay_alu instid0(VALU_DEP_1)
	s_and_saveexec_b32 s42, s18
	s_cbranch_execz .LBB10_100
; %bb.95:
	v_add_co_u32 v50, s19, s36, v49
	s_delay_alu instid0(VALU_DEP_1) | instskip(SKIP_1) | instid1(VALU_DEP_2)
	v_add_co_ci_u32_e64 v51, null, s37, 0, s19
	v_mov_b32_e32 v31, 0
	v_or_b32_e32 v32, s39, v51
	s_delay_alu instid0(VALU_DEP_1) | instskip(SKIP_1) | instid1(SALU_CYCLE_1)
	v_cmp_ne_u64_e32 vcc_lo, 0, v[31:32]
                                        ; implicit-def: $vgpr31_vgpr32
	s_and_saveexec_b32 s19, vcc_lo
	s_xor_b32 s43, exec_lo, s19
	s_cbranch_execz .LBB10_97
; %bb.96:
	v_cvt_f32_u32_e32 v31, s38
	v_cvt_f32_u32_e32 v32, s39
	s_sub_u32 s19, 0, s38
	s_subb_u32 s46, 0, s39
	s_delay_alu instid0(VALU_DEP_1) | instskip(NEXT) | instid1(VALU_DEP_1)
	v_fmamk_f32 v31, v32, 0x4f800000, v31
	v_rcp_f32_e32 v31, v31
	s_waitcnt_depctr 0xfff
	v_mul_f32_e32 v31, 0x5f7ffffc, v31
	s_delay_alu instid0(VALU_DEP_1) | instskip(NEXT) | instid1(VALU_DEP_1)
	v_mul_f32_e32 v32, 0x2f800000, v31
	v_trunc_f32_e32 v32, v32
	s_delay_alu instid0(VALU_DEP_1) | instskip(SKIP_1) | instid1(VALU_DEP_2)
	v_fmamk_f32 v31, v32, 0xcf800000, v31
	v_cvt_u32_f32_e32 v32, v32
	v_cvt_u32_f32_e32 v31, v31
	s_delay_alu instid0(VALU_DEP_2) | instskip(NEXT) | instid1(VALU_DEP_2)
	v_mul_lo_u32 v52, s19, v32
	v_mul_hi_u32 v53, s19, v31
	v_mul_lo_u32 v54, s46, v31
	s_delay_alu instid0(VALU_DEP_2) | instskip(SKIP_1) | instid1(VALU_DEP_2)
	v_add_nc_u32_e32 v52, v53, v52
	v_mul_lo_u32 v53, s19, v31
	v_add_nc_u32_e32 v52, v52, v54
	s_delay_alu instid0(VALU_DEP_2) | instskip(NEXT) | instid1(VALU_DEP_2)
	v_mul_hi_u32 v54, v31, v53
	v_mul_lo_u32 v55, v31, v52
	v_mul_hi_u32 v56, v31, v52
	v_mul_hi_u32 v57, v32, v53
	v_mul_lo_u32 v53, v32, v53
	v_mul_hi_u32 v58, v32, v52
	v_mul_lo_u32 v52, v32, v52
	v_add_co_u32 v54, vcc_lo, v54, v55
	v_add_co_ci_u32_e32 v55, vcc_lo, 0, v56, vcc_lo
	s_delay_alu instid0(VALU_DEP_2) | instskip(NEXT) | instid1(VALU_DEP_2)
	v_add_co_u32 v53, vcc_lo, v54, v53
	v_add_co_ci_u32_e32 v53, vcc_lo, v55, v57, vcc_lo
	v_add_co_ci_u32_e32 v54, vcc_lo, 0, v58, vcc_lo
	s_delay_alu instid0(VALU_DEP_2) | instskip(NEXT) | instid1(VALU_DEP_2)
	v_add_co_u32 v52, vcc_lo, v53, v52
	v_add_co_ci_u32_e32 v53, vcc_lo, 0, v54, vcc_lo
	s_delay_alu instid0(VALU_DEP_2) | instskip(NEXT) | instid1(VALU_DEP_2)
	v_add_co_u32 v31, vcc_lo, v31, v52
	v_add_co_ci_u32_e32 v32, vcc_lo, v32, v53, vcc_lo
	s_delay_alu instid0(VALU_DEP_2) | instskip(SKIP_1) | instid1(VALU_DEP_3)
	v_mul_hi_u32 v52, s19, v31
	v_mul_lo_u32 v54, s46, v31
	v_mul_lo_u32 v53, s19, v32
	s_delay_alu instid0(VALU_DEP_1) | instskip(SKIP_1) | instid1(VALU_DEP_2)
	v_add_nc_u32_e32 v52, v52, v53
	v_mul_lo_u32 v53, s19, v31
	v_add_nc_u32_e32 v52, v52, v54
	s_delay_alu instid0(VALU_DEP_2) | instskip(NEXT) | instid1(VALU_DEP_2)
	v_mul_hi_u32 v54, v31, v53
	v_mul_lo_u32 v55, v31, v52
	v_mul_hi_u32 v56, v31, v52
	v_mul_hi_u32 v57, v32, v53
	v_mul_lo_u32 v53, v32, v53
	v_mul_hi_u32 v58, v32, v52
	v_mul_lo_u32 v52, v32, v52
	v_add_co_u32 v54, vcc_lo, v54, v55
	v_add_co_ci_u32_e32 v55, vcc_lo, 0, v56, vcc_lo
	s_delay_alu instid0(VALU_DEP_2) | instskip(NEXT) | instid1(VALU_DEP_2)
	v_add_co_u32 v53, vcc_lo, v54, v53
	v_add_co_ci_u32_e32 v53, vcc_lo, v55, v57, vcc_lo
	v_add_co_ci_u32_e32 v54, vcc_lo, 0, v58, vcc_lo
	s_delay_alu instid0(VALU_DEP_2) | instskip(NEXT) | instid1(VALU_DEP_2)
	v_add_co_u32 v52, vcc_lo, v53, v52
	v_add_co_ci_u32_e32 v53, vcc_lo, 0, v54, vcc_lo
	s_delay_alu instid0(VALU_DEP_2) | instskip(NEXT) | instid1(VALU_DEP_2)
	v_add_co_u32 v54, vcc_lo, v31, v52
	v_add_co_ci_u32_e32 v56, vcc_lo, v32, v53, vcc_lo
	s_delay_alu instid0(VALU_DEP_2) | instskip(SKIP_1) | instid1(VALU_DEP_3)
	v_mul_hi_u32 v57, v50, v54
	v_mad_u64_u32 v[52:53], null, v51, v54, 0
	v_mad_u64_u32 v[31:32], null, v50, v56, 0
	;; [unrolled: 1-line block ×3, first 2 shown]
	s_delay_alu instid0(VALU_DEP_2) | instskip(NEXT) | instid1(VALU_DEP_3)
	v_add_co_u32 v31, vcc_lo, v57, v31
	v_add_co_ci_u32_e32 v32, vcc_lo, 0, v32, vcc_lo
	s_delay_alu instid0(VALU_DEP_2) | instskip(NEXT) | instid1(VALU_DEP_2)
	v_add_co_u32 v31, vcc_lo, v31, v52
	v_add_co_ci_u32_e32 v31, vcc_lo, v32, v53, vcc_lo
	v_add_co_ci_u32_e32 v32, vcc_lo, 0, v55, vcc_lo
	s_delay_alu instid0(VALU_DEP_2) | instskip(NEXT) | instid1(VALU_DEP_2)
	v_add_co_u32 v52, vcc_lo, v31, v54
	v_add_co_ci_u32_e32 v53, vcc_lo, 0, v32, vcc_lo
	s_delay_alu instid0(VALU_DEP_2) | instskip(SKIP_1) | instid1(VALU_DEP_3)
	v_mul_lo_u32 v54, s39, v52
	v_mad_u64_u32 v[31:32], null, s38, v52, 0
	v_mul_lo_u32 v55, s38, v53
	s_delay_alu instid0(VALU_DEP_2) | instskip(NEXT) | instid1(VALU_DEP_2)
	v_sub_co_u32 v31, vcc_lo, v50, v31
	v_add3_u32 v32, v32, v55, v54
	s_delay_alu instid0(VALU_DEP_1) | instskip(NEXT) | instid1(VALU_DEP_1)
	v_sub_nc_u32_e32 v54, v51, v32
	v_subrev_co_ci_u32_e64 v50, s19, s39, v54, vcc_lo
	v_add_co_u32 v54, s19, v52, 2
	s_delay_alu instid0(VALU_DEP_1) | instskip(SKIP_3) | instid1(VALU_DEP_3)
	v_add_co_ci_u32_e64 v55, s19, 0, v53, s19
	v_sub_co_u32 v56, s19, v31, s38
	v_sub_co_ci_u32_e32 v32, vcc_lo, v51, v32, vcc_lo
	v_subrev_co_ci_u32_e64 v50, s19, 0, v50, s19
	v_cmp_le_u32_e32 vcc_lo, s38, v56
	s_delay_alu instid0(VALU_DEP_3) | instskip(SKIP_1) | instid1(VALU_DEP_4)
	v_cmp_eq_u32_e64 s19, s39, v32
	v_cndmask_b32_e64 v51, 0, -1, vcc_lo
	v_cmp_le_u32_e32 vcc_lo, s39, v50
	v_cndmask_b32_e64 v56, 0, -1, vcc_lo
	v_cmp_le_u32_e32 vcc_lo, s38, v31
	;; [unrolled: 2-line block ×3, first 2 shown]
	v_cndmask_b32_e64 v57, 0, -1, vcc_lo
	v_cmp_eq_u32_e32 vcc_lo, s39, v50
	s_delay_alu instid0(VALU_DEP_2) | instskip(SKIP_3) | instid1(VALU_DEP_3)
	v_cndmask_b32_e64 v31, v57, v31, s19
	v_cndmask_b32_e32 v50, v56, v51, vcc_lo
	v_add_co_u32 v51, vcc_lo, v52, 1
	v_add_co_ci_u32_e32 v56, vcc_lo, 0, v53, vcc_lo
	v_cmp_ne_u32_e32 vcc_lo, 0, v50
	s_delay_alu instid0(VALU_DEP_3) | instskip(NEXT) | instid1(VALU_DEP_3)
	v_cndmask_b32_e32 v50, v51, v54, vcc_lo
	v_cndmask_b32_e32 v32, v56, v55, vcc_lo
	v_cmp_ne_u32_e32 vcc_lo, 0, v31
	s_delay_alu instid0(VALU_DEP_2)
	v_dual_cndmask_b32 v32, v53, v32 :: v_dual_cndmask_b32 v31, v52, v50
                                        ; implicit-def: $vgpr50
.LBB10_97:
	s_and_not1_saveexec_b32 s19, s43
	s_cbranch_execz .LBB10_99
; %bb.98:
	v_cvt_f32_u32_e32 v31, s38
	s_sub_i32 s43, 0, s38
	s_delay_alu instid0(VALU_DEP_1) | instskip(SKIP_2) | instid1(VALU_DEP_1)
	v_rcp_iflag_f32_e32 v31, v31
	s_waitcnt_depctr 0xfff
	v_mul_f32_e32 v31, 0x4f7ffffe, v31
	v_cvt_u32_f32_e32 v31, v31
	s_delay_alu instid0(VALU_DEP_1) | instskip(NEXT) | instid1(VALU_DEP_1)
	v_mul_lo_u32 v32, s43, v31
	v_mul_hi_u32 v32, v31, v32
	s_delay_alu instid0(VALU_DEP_1) | instskip(NEXT) | instid1(VALU_DEP_1)
	v_add_nc_u32_e32 v31, v31, v32
	v_mul_hi_u32 v31, v50, v31
	s_delay_alu instid0(VALU_DEP_1) | instskip(NEXT) | instid1(VALU_DEP_1)
	v_mul_lo_u32 v32, v31, s38
	v_sub_nc_u32_e32 v32, v50, v32
	v_add_nc_u32_e32 v50, 1, v31
	s_delay_alu instid0(VALU_DEP_2) | instskip(SKIP_1) | instid1(VALU_DEP_2)
	v_subrev_nc_u32_e32 v51, s38, v32
	v_cmp_le_u32_e32 vcc_lo, s38, v32
	v_dual_cndmask_b32 v32, v32, v51 :: v_dual_cndmask_b32 v31, v31, v50
	s_delay_alu instid0(VALU_DEP_1) | instskip(NEXT) | instid1(VALU_DEP_2)
	v_cmp_le_u32_e32 vcc_lo, s38, v32
	v_add_nc_u32_e32 v50, 1, v31
	s_delay_alu instid0(VALU_DEP_1)
	v_dual_mov_b32 v32, 0 :: v_dual_cndmask_b32 v31, v31, v50
.LBB10_99:
	s_or_b32 exec_lo, exec_lo, s19
.LBB10_100:
	s_delay_alu instid0(SALU_CYCLE_1)
	s_or_b32 exec_lo, exec_lo, s42
	v_lshrrev_b32_e32 v50, 5, v0
	v_lshrrev_b32_e32 v35, 5, v35
	;; [unrolled: 1-line block ×5, first 2 shown]
	v_add_nc_u32_e32 v37, v50, v0
	v_add_nc_u32_e32 v35, v35, v0
	v_lshrrev_b32_e32 v50, 5, v36
	v_lshrrev_b32_e32 v55, 5, v40
	v_add_nc_u32_e32 v53, v51, v0
	v_lshlrev_b32_e32 v56, 3, v37
	v_add_nc_u32_e32 v52, v39, v0
	v_lshlrev_b32_e32 v57, 3, v35
	v_add_nc_u32_e32 v39, v50, v0
	v_add_nc_u32_e32 v51, v54, v0
	ds_store_b64 v56, v[1:2]
	ds_store_b64 v57, v[3:4] offset:2048
	v_lshlrev_b32_e32 v1, 3, v53
	v_lshlrev_b32_e32 v2, 3, v52
	v_add_nc_u32_e32 v50, v55, v0
	v_lshlrev_b32_e32 v3, 3, v39
	v_lshrrev_b32_e32 v4, 5, v43
	ds_store_b64 v1, v[5:6] offset:4096
	v_lshlrev_b32_e32 v1, 3, v51
	ds_store_b64 v2, v[7:8] offset:6144
	ds_store_b64 v3, v[9:10] offset:8192
	v_lshlrev_b32_e32 v2, 3, v50
	v_lshrrev_b32_e32 v3, 5, v41
	v_add_nc_u32_e32 v55, v4, v0
	ds_store_b64 v1, v[11:12] offset:10240
	v_lshrrev_b32_e32 v1, 5, v42
	ds_store_b64 v2, v[13:14] offset:12288
	v_lshrrev_b32_e32 v2, 5, v44
	v_add_nc_u32_e32 v54, v3, v0
	v_lshlrev_b32_e32 v4, 3, v55
	v_add_nc_u32_e32 v56, v1, v0
	v_lshrrev_b32_e32 v1, 5, v45
	v_add_nc_u32_e32 v58, v2, v0
	v_lshlrev_b32_e32 v3, 3, v54
	v_lshlrev_b32_e32 v65, 4, v0
	;; [unrolled: 1-line block ×3, first 2 shown]
	v_add_nc_u32_e32 v57, v1, v0
	v_lshlrev_b32_e32 v1, 3, v58
	ds_store_b64 v3, v[15:16] offset:14336
	ds_store_b64 v2, v[17:18] offset:16384
	;; [unrolled: 1-line block ×3, first 2 shown]
	v_lshlrev_b32_e32 v2, 3, v57
	ds_store_b64 v1, v[21:22] offset:20480
	v_lshrrev_b32_e32 v1, 5, v47
	v_lshrrev_b32_e32 v3, 5, v46
	;; [unrolled: 1-line block ×3, first 2 shown]
	ds_store_b64 v2, v[23:24] offset:22528
	v_lshrrev_b32_e32 v2, 5, v49
	v_add_nc_u32_e32 v61, v1, v0
	v_lshrrev_b32_e32 v1, 1, v0
	v_add_nc_u32_e32 v59, v3, v0
	v_add_nc_u32_e32 v60, v4, v0
	;; [unrolled: 1-line block ×3, first 2 shown]
	v_lshlrev_b32_e32 v3, 3, v61
	v_add_nc_u32_e32 v67, v1, v65
	v_lshlrev_b32_e32 v2, 3, v59
	v_lshlrev_b32_e32 v4, 3, v60
	;; [unrolled: 1-line block ×3, first 2 shown]
	ds_store_b64 v2, v[25:26] offset:24576
	ds_store_b64 v3, v[27:28] offset:26624
	;; [unrolled: 1-line block ×3, first 2 shown]
	v_lshlrev_b32_e32 v5, 3, v67
	ds_store_b64 v1, v[31:32] offset:30720
	s_waitcnt lgkmcnt(0)
	s_barrier
	buffer_gl0_inv
	ds_load_2addr_b64 v[29:32], v5 offset1:1
	ds_load_2addr_b64 v[25:28], v5 offset0:2 offset1:3
	ds_load_2addr_b64 v[21:24], v5 offset0:4 offset1:5
	;; [unrolled: 1-line block ×7, first 2 shown]
	s_cmp_eq_u64 s[40:41], 0
	s_cbranch_scc1 .LBB10_109
; %bb.101:
	s_and_not1_b32 vcc_lo, exec_lo, s48
	s_cbranch_vccnz .LBB10_105
; %bb.102:
	s_lshl_b64 s[42:43], s[40:41], 3
	s_delay_alu instid0(SALU_CYCLE_1)
	s_add_u32 s19, s26, s42
	s_addc_u32 s43, s27, s43
	s_add_u32 s42, s19, -8
	s_addc_u32 s43, s43, -1
	s_load_b64 s[42:43], s[42:43], 0x0
	s_waitcnt lgkmcnt(0)
	v_dual_mov_b32 v33, s42 :: v_dual_mov_b32 v34, s43
	s_cbranch_execz .LBB10_106
	s_branch .LBB10_109
.LBB10_103:
                                        ; implicit-def: $sgpr2
                                        ; implicit-def: $vgpr66
                                        ; implicit-def: $vgpr35_vgpr36
                                        ; implicit-def: $vgpr37_vgpr38
                                        ; implicit-def: $vgpr39_vgpr40
                                        ; implicit-def: $vgpr41_vgpr42
                                        ; implicit-def: $vgpr43_vgpr44
                                        ; implicit-def: $vgpr45_vgpr46
                                        ; implicit-def: $vgpr47_vgpr48
                                        ; implicit-def: $vgpr49_vgpr50
                                        ; implicit-def: $vgpr51_vgpr52
                                        ; implicit-def: $vgpr53_vgpr54
                                        ; implicit-def: $vgpr55_vgpr56
                                        ; implicit-def: $vgpr57_vgpr58
                                        ; implicit-def: $vgpr59_vgpr60
                                        ; implicit-def: $vgpr61_vgpr62
                                        ; implicit-def: $vgpr63_vgpr64
                                        ; implicit-def: $sgpr4_sgpr5
	s_cbranch_execnz .LBB10_159
	s_branch .LBB10_253
.LBB10_104:
                                        ; implicit-def: $vgpr33_vgpr34
	s_branch .LBB10_3
.LBB10_105:
                                        ; implicit-def: $sgpr42_sgpr43
	v_dual_mov_b32 v33, s42 :: v_dual_mov_b32 v34, s43
.LBB10_106:
	s_add_u32 s42, s36, -1
	s_addc_u32 s43, s37, -1
	s_delay_alu instid0(SALU_CYCLE_1) | instskip(SKIP_1) | instid1(SALU_CYCLE_1)
	s_or_b64 s[46:47], s[42:43], s[38:39]
	s_mov_b32 s46, 0
	s_cmp_lg_u64 s[46:47], 0
	s_cbranch_scc0 .LBB10_345
; %bb.107:
	v_cvt_f32_u32_e32 v33, s38
	v_cvt_f32_u32_e32 v34, s39
	s_sub_u32 s50, 0, s38
	s_subb_u32 s51, 0, s39
	s_delay_alu instid0(VALU_DEP_1) | instskip(NEXT) | instid1(VALU_DEP_1)
	v_fmamk_f32 v33, v34, 0x4f800000, v33
	v_rcp_f32_e32 v33, v33
	s_waitcnt_depctr 0xfff
	v_mul_f32_e32 v33, 0x5f7ffffc, v33
	s_delay_alu instid0(VALU_DEP_1) | instskip(NEXT) | instid1(VALU_DEP_1)
	v_mul_f32_e32 v34, 0x2f800000, v33
	v_trunc_f32_e32 v34, v34
	s_delay_alu instid0(VALU_DEP_1) | instskip(SKIP_1) | instid1(VALU_DEP_2)
	v_fmamk_f32 v33, v34, 0xcf800000, v33
	v_cvt_u32_f32_e32 v34, v34
	v_cvt_u32_f32_e32 v33, v33
	s_delay_alu instid0(VALU_DEP_2) | instskip(NEXT) | instid1(VALU_DEP_2)
	v_readfirstlane_b32 s19, v34
	v_readfirstlane_b32 s47, v33
	s_delay_alu instid0(VALU_DEP_2) | instskip(NEXT) | instid1(VALU_DEP_1)
	s_mul_i32 s52, s50, s19
	s_mul_hi_u32 s54, s50, s47
	s_mul_i32 s53, s51, s47
	s_add_i32 s52, s54, s52
	s_mul_i32 s55, s50, s47
	s_add_i32 s52, s52, s53
	s_mul_hi_u32 s54, s47, s55
	s_mul_hi_u32 s56, s19, s55
	s_mul_i32 s53, s19, s55
	s_mul_hi_u32 s55, s47, s52
	s_mul_i32 s47, s47, s52
	s_mul_hi_u32 s57, s19, s52
	s_add_u32 s47, s54, s47
	s_addc_u32 s54, 0, s55
	s_add_u32 s47, s47, s53
	s_mul_i32 s52, s19, s52
	s_addc_u32 s47, s54, s56
	s_addc_u32 s53, s57, 0
	s_add_u32 s47, s47, s52
	s_addc_u32 s52, 0, s53
	v_add_co_u32 v33, s47, v33, s47
	s_delay_alu instid0(VALU_DEP_1) | instskip(SKIP_1) | instid1(VALU_DEP_1)
	s_cmp_lg_u32 s47, 0
	s_addc_u32 s19, s19, s52
	v_readfirstlane_b32 s47, v33
	s_mul_i32 s52, s50, s19
	s_delay_alu instid0(VALU_DEP_1)
	s_mul_hi_u32 s53, s50, s47
	s_mul_i32 s51, s51, s47
	s_add_i32 s52, s53, s52
	s_mul_i32 s50, s50, s47
	s_add_i32 s52, s52, s51
	s_mul_hi_u32 s53, s19, s50
	s_mul_i32 s54, s19, s50
	s_mul_hi_u32 s50, s47, s50
	s_mul_hi_u32 s55, s47, s52
	s_mul_i32 s47, s47, s52
	s_mul_hi_u32 s51, s19, s52
	s_add_u32 s47, s50, s47
	s_addc_u32 s50, 0, s55
	s_add_u32 s47, s47, s54
	s_mul_i32 s52, s19, s52
	s_addc_u32 s47, s50, s53
	s_addc_u32 s50, s51, 0
	s_add_u32 s47, s47, s52
	s_addc_u32 s50, 0, s50
	v_add_co_u32 v33, s47, v33, s47
	s_delay_alu instid0(VALU_DEP_1) | instskip(SKIP_1) | instid1(VALU_DEP_1)
	s_cmp_lg_u32 s47, 0
	s_addc_u32 s19, s19, s50
	v_readfirstlane_b32 s47, v33
	s_mul_i32 s51, s42, s19
	s_mul_hi_u32 s50, s42, s19
	s_mul_hi_u32 s52, s43, s19
	s_mul_i32 s19, s43, s19
	s_mul_hi_u32 s53, s42, s47
	s_mul_hi_u32 s54, s43, s47
	s_mul_i32 s47, s43, s47
	s_add_u32 s51, s53, s51
	s_addc_u32 s50, 0, s50
	s_add_u32 s47, s51, s47
	s_addc_u32 s47, s50, s54
	s_addc_u32 s50, s52, 0
	s_add_u32 s47, s47, s19
	s_addc_u32 s50, 0, s50
	s_mul_hi_u32 s19, s38, s47
	s_mul_i32 s52, s38, s50
	s_mul_i32 s53, s38, s47
	s_add_i32 s19, s19, s52
	v_sub_co_u32 v33, s52, s42, s53
	s_mul_i32 s51, s39, s47
	s_delay_alu instid0(SALU_CYCLE_1) | instskip(NEXT) | instid1(VALU_DEP_1)
	s_add_i32 s19, s19, s51
	v_sub_co_u32 v34, s53, v33, s38
	s_sub_i32 s51, s43, s19
	s_cmp_lg_u32 s52, 0
	s_subb_u32 s51, s51, s39
	s_cmp_lg_u32 s53, 0
	v_cmp_le_u32_e32 vcc_lo, s38, v34
	s_subb_u32 s51, s51, 0
	s_delay_alu instid0(SALU_CYCLE_1)
	s_cmp_ge_u32 s51, s39
	v_cndmask_b32_e64 v34, 0, -1, vcc_lo
	s_cselect_b32 s53, -1, 0
	s_cmp_eq_u32 s51, s39
	s_cselect_b32 vcc_lo, -1, 0
	s_add_u32 s51, s47, 1
	v_cndmask_b32_e32 v34, s53, v34, vcc_lo
	s_addc_u32 s53, s50, 0
	s_add_u32 s54, s47, 2
	s_addc_u32 s55, s50, 0
	v_mov_b32_e32 v63, s54
	s_cmp_lg_u32 s52, 0
	v_cmp_le_u32_e32 vcc_lo, s38, v33
	s_subb_u32 s19, s43, s19
	s_delay_alu instid0(SALU_CYCLE_1)
	s_cmp_ge_u32 s19, s39
	v_cndmask_b32_e64 v33, 0, -1, vcc_lo
	s_cselect_b32 s43, -1, 0
	s_cmp_eq_u32 s19, s39
	v_cmp_ne_u32_e32 vcc_lo, 0, v34
	s_cselect_b32 s19, -1, 0
	v_mov_b32_e32 v34, s55
	v_cndmask_b32_e64 v33, s43, v33, s19
	v_cndmask_b32_e32 v63, s51, v63, vcc_lo
	s_delay_alu instid0(VALU_DEP_3) | instskip(NEXT) | instid1(VALU_DEP_3)
	v_cndmask_b32_e32 v34, s53, v34, vcc_lo
	v_cmp_ne_u32_e32 vcc_lo, 0, v33
	s_delay_alu instid0(VALU_DEP_2) | instskip(NEXT) | instid1(VALU_DEP_4)
	v_cndmask_b32_e32 v34, s50, v34, vcc_lo
	v_cndmask_b32_e32 v33, s47, v63, vcc_lo
	s_and_not1_b32 vcc_lo, exec_lo, s46
	s_cbranch_vccnz .LBB10_109
.LBB10_108:
	v_cvt_f32_u32_e32 v33, s38
	s_sub_i32 s43, 0, s38
	s_delay_alu instid0(VALU_DEP_1) | instskip(SKIP_2) | instid1(VALU_DEP_1)
	v_rcp_iflag_f32_e32 v33, v33
	s_waitcnt_depctr 0xfff
	v_mul_f32_e32 v33, 0x4f7ffffe, v33
	v_cvt_u32_f32_e32 v33, v33
	s_delay_alu instid0(VALU_DEP_1) | instskip(NEXT) | instid1(VALU_DEP_1)
	v_readfirstlane_b32 s19, v33
	s_mul_i32 s43, s43, s19
	s_delay_alu instid0(SALU_CYCLE_1) | instskip(NEXT) | instid1(SALU_CYCLE_1)
	s_mul_hi_u32 s43, s19, s43
	s_add_i32 s19, s19, s43
	s_delay_alu instid0(SALU_CYCLE_1) | instskip(NEXT) | instid1(SALU_CYCLE_1)
	s_mul_hi_u32 s19, s42, s19
	s_mul_i32 s43, s19, s38
	s_delay_alu instid0(SALU_CYCLE_1)
	s_sub_i32 s42, s42, s43
	s_add_i32 s43, s19, 1
	s_sub_i32 s46, s42, s38
	s_cmp_ge_u32 s42, s38
	s_cselect_b32 s19, s43, s19
	s_cselect_b32 s42, s46, s42
	s_add_i32 s46, s19, 1
	s_cmp_ge_u32 s42, s38
	s_mov_b32 s43, 0
	s_cselect_b32 s42, s46, s19
	s_delay_alu instid0(SALU_CYCLE_1)
	v_dual_mov_b32 v33, s42 :: v_dual_mov_b32 v34, s43
.LBB10_109:
	v_lshlrev_b32_e32 v63, 3, v0
	s_mov_b32 s19, exec_lo
	s_waitcnt lgkmcnt(0)
	ds_store_b64 v63, v[7:8] offset:33792
	s_waitcnt lgkmcnt(0)
	s_barrier
	buffer_gl0_inv
	v_cmpx_ne_u32_e32 0, v0
	s_cbranch_execz .LBB10_111
; %bb.110:
	ds_load_b64 v[33:34], v63 offset:33784
.LBB10_111:
	s_or_b32 exec_lo, exec_lo, s19
	s_waitcnt lgkmcnt(0)
	s_barrier
	buffer_gl0_inv
                                        ; implicit-def: $vgpr63
	s_and_saveexec_b32 s19, s2
	s_cbranch_execnz .LBB10_226
; %bb.112:
	s_or_b32 exec_lo, exec_lo, s19
                                        ; implicit-def: $vgpr64
	s_and_saveexec_b32 s2, s3
	s_cbranch_execnz .LBB10_227
.LBB10_113:
	s_or_b32 exec_lo, exec_lo, s2
                                        ; implicit-def: $vgpr66
	s_and_saveexec_b32 s2, s4
	s_cbranch_execnz .LBB10_228
.LBB10_114:
	s_or_b32 exec_lo, exec_lo, s2
                                        ; implicit-def: $vgpr68
	s_and_saveexec_b32 s2, s5
	s_cbranch_execnz .LBB10_229
.LBB10_115:
	s_or_b32 exec_lo, exec_lo, s2
                                        ; implicit-def: $vgpr69
	s_and_saveexec_b32 s2, s6
	s_cbranch_execnz .LBB10_230
.LBB10_116:
	s_or_b32 exec_lo, exec_lo, s2
                                        ; implicit-def: $vgpr36
	s_and_saveexec_b32 s2, s7
	s_cbranch_execnz .LBB10_231
.LBB10_117:
	s_or_b32 exec_lo, exec_lo, s2
                                        ; implicit-def: $vgpr38
	s_and_saveexec_b32 s2, s8
	s_cbranch_execnz .LBB10_232
.LBB10_118:
	s_or_b32 exec_lo, exec_lo, s2
                                        ; implicit-def: $vgpr40
	s_and_saveexec_b32 s2, s9
	s_cbranch_execnz .LBB10_233
.LBB10_119:
	s_or_b32 exec_lo, exec_lo, s2
                                        ; implicit-def: $vgpr41
	s_and_saveexec_b32 s2, s10
	s_cbranch_execnz .LBB10_234
.LBB10_120:
	s_or_b32 exec_lo, exec_lo, s2
                                        ; implicit-def: $vgpr42
	s_and_saveexec_b32 s2, s11
	s_cbranch_execnz .LBB10_235
.LBB10_121:
	s_or_b32 exec_lo, exec_lo, s2
                                        ; implicit-def: $vgpr43
	s_and_saveexec_b32 s2, s12
	s_cbranch_execnz .LBB10_236
.LBB10_122:
	s_or_b32 exec_lo, exec_lo, s2
                                        ; implicit-def: $vgpr44
	s_and_saveexec_b32 s2, s13
	s_cbranch_execnz .LBB10_237
.LBB10_123:
	s_or_b32 exec_lo, exec_lo, s2
                                        ; implicit-def: $vgpr45
	s_and_saveexec_b32 s2, s14
	s_cbranch_execnz .LBB10_238
.LBB10_124:
	s_or_b32 exec_lo, exec_lo, s2
                                        ; implicit-def: $vgpr46
	s_and_saveexec_b32 s2, s16
	s_cbranch_execnz .LBB10_239
.LBB10_125:
	s_or_b32 exec_lo, exec_lo, s2
                                        ; implicit-def: $vgpr47
	s_and_saveexec_b32 s2, s17
	s_cbranch_execnz .LBB10_240
.LBB10_126:
	s_or_b32 exec_lo, exec_lo, s2
                                        ; implicit-def: $vgpr48
	s_and_saveexec_b32 s2, s18
	s_cbranch_execz .LBB10_128
.LBB10_127:
	v_lshlrev_b32_e32 v48, 2, v49
	s_delay_alu instid0(VALU_DEP_1) | instskip(NEXT) | instid1(VALU_DEP_1)
	v_add_co_u32 v48, s3, s31, v48
	v_add_co_ci_u32_e64 v49, null, s33, 0, s3
	flat_load_b32 v48, v[48:49]
.LBB10_128:
	s_or_b32 exec_lo, exec_lo, s2
	v_lshlrev_b32_e32 v37, 2, v37
	v_lshlrev_b32_e32 v35, 2, v35
	;; [unrolled: 1-line block ×4, first 2 shown]
	v_cmp_gt_u32_e32 vcc_lo, s49, v65
	s_waitcnt vmcnt(0) lgkmcnt(0)
	ds_store_b32 v37, v63
	ds_store_b32 v35, v64 offset:1024
	v_lshlrev_b32_e32 v35, 2, v39
	v_lshlrev_b32_e32 v37, 2, v51
	;; [unrolled: 1-line block ×3, first 2 shown]
	ds_store_b32 v49, v66 offset:2048
	ds_store_b32 v52, v68 offset:3072
	;; [unrolled: 1-line block ×4, first 2 shown]
	v_lshlrev_b32_e32 v35, 2, v54
	v_lshlrev_b32_e32 v36, 2, v56
	;; [unrolled: 1-line block ×3, first 2 shown]
	ds_store_b32 v39, v38 offset:6144
	v_lshlrev_b32_e32 v38, 2, v58
	ds_store_b32 v35, v40 offset:7168
	ds_store_b32 v36, v41 offset:8192
	v_lshlrev_b32_e32 v35, 2, v57
	v_lshlrev_b32_e32 v36, 2, v59
	ds_store_b32 v37, v42 offset:9216
	ds_store_b32 v38, v43 offset:10240
	v_lshlrev_b32_e32 v37, 2, v61
	s_mov_b32 s6, 0
	ds_store_b32 v35, v44 offset:11264
	ds_store_b32 v36, v45 offset:12288
	;; [unrolled: 1-line block ×3, first 2 shown]
	v_mov_b32_e32 v35, 0
	v_mov_b32_e32 v36, 0
	v_lshlrev_b32_e32 v38, 2, v60
	v_lshlrev_b32_e32 v39, 2, v62
	ds_store_b32 v38, v47 offset:14336
	ds_store_b32 v39, v48 offset:15360
	v_mov_b32_e32 v48, v36
	v_mov_b32_e32 v42, v36
	;; [unrolled: 1-line block ×3, first 2 shown]
	v_dual_mov_b32 v46, v36 :: v_dual_mov_b32 v41, v35
	v_dual_mov_b32 v50, v36 :: v_dual_mov_b32 v43, v35
	;; [unrolled: 1-line block ×4, first 2 shown]
	v_mov_b32_e32 v56, v36
	v_mov_b32_e32 v38, v36
	v_dual_mov_b32 v40, v36 :: v_dual_mov_b32 v49, v35
	v_dual_mov_b32 v58, v36 :: v_dual_mov_b32 v51, v35
	;; [unrolled: 1-line block ×5, first 2 shown]
	v_mov_b32_e32 v39, v35
	v_mov_b32_e32 v57, v35
	;; [unrolled: 1-line block ×5, first 2 shown]
	s_mov_b64 s[4:5], 0
	s_mov_b32 s3, 0
	s_waitcnt lgkmcnt(0)
	s_barrier
	buffer_gl0_inv
                                        ; implicit-def: $sgpr2
                                        ; implicit-def: $vgpr66
	s_and_saveexec_b32 s7, vcc_lo
	s_cbranch_execz .LBB10_158
; %bb.129:
	v_lshlrev_b32_e32 v67, 2, v67
	v_mov_b32_e32 v37, 0
	v_mov_b32_e32 v38, 0
	v_cmp_ne_u64_e32 vcc_lo, v[33:34], v[29:30]
	v_or_b32_e32 v39, 1, v65
	ds_load_b32 v35, v67
                                        ; implicit-def: $sgpr2
                                        ; implicit-def: $vgpr66
	v_dual_mov_b32 v42, v38 :: v_dual_mov_b32 v41, v37
	v_cndmask_b32_e64 v36, 0, 1, vcc_lo
	v_cmp_gt_u32_e32 vcc_lo, s49, v39
	v_dual_mov_b32 v40, v38 :: v_dual_mov_b32 v39, v37
	v_dual_mov_b32 v44, v38 :: v_dual_mov_b32 v43, v37
	;; [unrolled: 1-line block ×12, first 2 shown]
	s_and_saveexec_b32 s8, vcc_lo
	s_cbranch_execz .LBB10_157
; %bb.130:
	ds_load_2addr_b32 v[33:34], v67 offset0:1 offset1:2
	v_mov_b32_e32 v39, 0
	v_cmp_ne_u64_e32 vcc_lo, v[29:30], v[31:32]
	v_or_b32_e32 v37, 2, v65
	v_mov_b32_e32 v40, 0
                                        ; implicit-def: $sgpr2
                                        ; implicit-def: $vgpr66
	v_cndmask_b32_e64 v38, 0, 1, vcc_lo
	s_delay_alu instid0(VALU_DEP_3) | instskip(SKIP_1) | instid1(VALU_DEP_3)
	v_cmp_gt_u32_e32 vcc_lo, s49, v37
	s_waitcnt lgkmcnt(0)
	v_dual_mov_b32 v37, v33 :: v_dual_mov_b32 v42, v40
	v_dual_mov_b32 v41, v39 :: v_dual_mov_b32 v44, v40
	;; [unrolled: 1-line block ×12, first 2 shown]
	v_mov_b32_e32 v63, v39
	s_and_saveexec_b32 s9, vcc_lo
	s_cbranch_execz .LBB10_156
; %bb.131:
	v_mov_b32_e32 v41, 0
	v_cmp_ne_u64_e32 vcc_lo, v[31:32], v[25:26]
	v_dual_mov_b32 v42, 0 :: v_dual_mov_b32 v39, v34
	v_or_b32_e32 v29, 3, v65
	s_mov_b32 s10, exec_lo
                                        ; implicit-def: $sgpr2
                                        ; implicit-def: $vgpr66
	v_cndmask_b32_e64 v40, 0, 1, vcc_lo
	s_delay_alu instid0(VALU_DEP_3)
	v_dual_mov_b32 v44, v42 :: v_dual_mov_b32 v43, v41
	v_dual_mov_b32 v46, v42 :: v_dual_mov_b32 v45, v41
	;; [unrolled: 1-line block ×11, first 2 shown]
	v_cmpx_gt_u32_e64 s49, v29
	s_cbranch_execz .LBB10_155
; %bb.132:
	ds_load_2addr_b32 v[29:30], v67 offset0:3 offset1:4
	v_mov_b32_e32 v43, 0
	v_cmp_ne_u64_e32 vcc_lo, v[25:26], v[27:28]
	v_mov_b32_e32 v44, 0
	v_or_b32_e32 v31, 4, v65
	s_mov_b32 s11, exec_lo
                                        ; implicit-def: $sgpr2
                                        ; implicit-def: $vgpr66
	v_cndmask_b32_e64 v42, 0, 1, vcc_lo
	s_waitcnt lgkmcnt(0)
	v_dual_mov_b32 v41, v29 :: v_dual_mov_b32 v46, v44
	v_dual_mov_b32 v45, v43 :: v_dual_mov_b32 v48, v44
	;; [unrolled: 1-line block ×10, first 2 shown]
	v_mov_b32_e32 v63, v43
	v_cmpx_gt_u32_e64 s49, v31
	s_cbranch_execz .LBB10_154
; %bb.133:
	v_mov_b32_e32 v45, 0
	v_cmp_ne_u64_e32 vcc_lo, v[27:28], v[21:22]
	v_dual_mov_b32 v46, 0 :: v_dual_mov_b32 v43, v30
	v_or_b32_e32 v25, 5, v65
	s_mov_b32 s12, exec_lo
                                        ; implicit-def: $sgpr2
                                        ; implicit-def: $vgpr66
	v_cndmask_b32_e64 v44, 0, 1, vcc_lo
	s_delay_alu instid0(VALU_DEP_3)
	v_dual_mov_b32 v48, v46 :: v_dual_mov_b32 v47, v45
	v_dual_mov_b32 v50, v46 :: v_dual_mov_b32 v49, v45
	;; [unrolled: 1-line block ×9, first 2 shown]
	v_cmpx_gt_u32_e64 s49, v25
	s_cbranch_execz .LBB10_153
; %bb.134:
	ds_load_2addr_b32 v[25:26], v67 offset0:5 offset1:6
	v_mov_b32_e32 v47, 0
	v_cmp_ne_u64_e32 vcc_lo, v[21:22], v[23:24]
	v_mov_b32_e32 v48, 0
	v_or_b32_e32 v27, 6, v65
	s_mov_b32 s13, exec_lo
                                        ; implicit-def: $sgpr2
                                        ; implicit-def: $vgpr66
	v_cndmask_b32_e64 v46, 0, 1, vcc_lo
	s_waitcnt lgkmcnt(0)
	v_dual_mov_b32 v45, v25 :: v_dual_mov_b32 v50, v48
	v_dual_mov_b32 v49, v47 :: v_dual_mov_b32 v52, v48
	;; [unrolled: 1-line block ×8, first 2 shown]
	v_mov_b32_e32 v63, v47
	v_cmpx_gt_u32_e64 s49, v27
	s_cbranch_execz .LBB10_152
; %bb.135:
	v_mov_b32_e32 v49, 0
	v_cmp_ne_u64_e32 vcc_lo, v[23:24], v[17:18]
	v_dual_mov_b32 v50, 0 :: v_dual_mov_b32 v47, v26
	v_or_b32_e32 v21, 7, v65
	s_mov_b32 s14, exec_lo
                                        ; implicit-def: $sgpr2
                                        ; implicit-def: $vgpr66
	v_cndmask_b32_e64 v48, 0, 1, vcc_lo
	s_delay_alu instid0(VALU_DEP_3)
	v_dual_mov_b32 v52, v50 :: v_dual_mov_b32 v51, v49
	v_dual_mov_b32 v54, v50 :: v_dual_mov_b32 v53, v49
	v_dual_mov_b32 v56, v50 :: v_dual_mov_b32 v55, v49
	v_dual_mov_b32 v58, v50 :: v_dual_mov_b32 v57, v49
	v_dual_mov_b32 v60, v50 :: v_dual_mov_b32 v59, v49
	v_dual_mov_b32 v62, v50 :: v_dual_mov_b32 v61, v49
	v_dual_mov_b32 v64, v50 :: v_dual_mov_b32 v63, v49
	v_cmpx_gt_u32_e64 s49, v21
	s_cbranch_execz .LBB10_151
; %bb.136:
	ds_load_2addr_b32 v[21:22], v67 offset0:7 offset1:8
	v_mov_b32_e32 v51, 0
	v_cmp_ne_u64_e32 vcc_lo, v[17:18], v[19:20]
	v_mov_b32_e32 v52, 0
	v_or_b32_e32 v23, 8, v65
	s_mov_b32 s16, exec_lo
                                        ; implicit-def: $sgpr2
                                        ; implicit-def: $vgpr66
	v_cndmask_b32_e64 v50, 0, 1, vcc_lo
	s_waitcnt lgkmcnt(0)
	v_dual_mov_b32 v49, v21 :: v_dual_mov_b32 v54, v52
	v_dual_mov_b32 v53, v51 :: v_dual_mov_b32 v56, v52
	;; [unrolled: 1-line block ×6, first 2 shown]
	v_mov_b32_e32 v63, v51
	v_cmpx_gt_u32_e64 s49, v23
	s_cbranch_execz .LBB10_150
; %bb.137:
	v_mov_b32_e32 v53, 0
	v_cmp_ne_u64_e32 vcc_lo, v[19:20], v[13:14]
	v_dual_mov_b32 v54, 0 :: v_dual_mov_b32 v51, v22
	v_or_b32_e32 v17, 9, v65
	s_mov_b32 s17, exec_lo
                                        ; implicit-def: $sgpr2
                                        ; implicit-def: $vgpr66
	v_cndmask_b32_e64 v52, 0, 1, vcc_lo
	s_delay_alu instid0(VALU_DEP_3)
	v_dual_mov_b32 v56, v54 :: v_dual_mov_b32 v55, v53
	v_dual_mov_b32 v58, v54 :: v_dual_mov_b32 v57, v53
	;; [unrolled: 1-line block ×5, first 2 shown]
	v_cmpx_gt_u32_e64 s49, v17
	s_cbranch_execz .LBB10_149
; %bb.138:
	ds_load_2addr_b32 v[17:18], v67 offset0:9 offset1:10
	v_mov_b32_e32 v55, 0
	v_cmp_ne_u64_e32 vcc_lo, v[13:14], v[15:16]
	v_mov_b32_e32 v56, 0
	v_or_b32_e32 v19, 10, v65
	s_mov_b32 s18, exec_lo
                                        ; implicit-def: $sgpr2
                                        ; implicit-def: $vgpr66
	v_cndmask_b32_e64 v54, 0, 1, vcc_lo
	s_waitcnt lgkmcnt(0)
	v_dual_mov_b32 v53, v17 :: v_dual_mov_b32 v58, v56
	v_dual_mov_b32 v57, v55 :: v_dual_mov_b32 v60, v56
	;; [unrolled: 1-line block ×4, first 2 shown]
	v_mov_b32_e32 v63, v55
	v_cmpx_gt_u32_e64 s49, v19
	s_cbranch_execz .LBB10_148
; %bb.139:
	v_mov_b32_e32 v57, 0
	v_cmp_ne_u64_e32 vcc_lo, v[15:16], v[9:10]
	v_dual_mov_b32 v58, 0 :: v_dual_mov_b32 v55, v18
	v_or_b32_e32 v13, 11, v65
	s_mov_b32 s19, exec_lo
                                        ; implicit-def: $sgpr2
                                        ; implicit-def: $vgpr66
	v_cndmask_b32_e64 v56, 0, 1, vcc_lo
	s_delay_alu instid0(VALU_DEP_3)
	v_dual_mov_b32 v60, v58 :: v_dual_mov_b32 v59, v57
	v_dual_mov_b32 v62, v58 :: v_dual_mov_b32 v61, v57
	;; [unrolled: 1-line block ×3, first 2 shown]
	v_cmpx_gt_u32_e64 s49, v13
	s_cbranch_execz .LBB10_147
; %bb.140:
	ds_load_2addr_b32 v[13:14], v67 offset0:11 offset1:12
	v_mov_b32_e32 v59, 0
	v_cmp_ne_u64_e32 vcc_lo, v[9:10], v[11:12]
	v_mov_b32_e32 v60, 0
	v_or_b32_e32 v15, 12, v65
	s_mov_b32 s42, exec_lo
                                        ; implicit-def: $sgpr2
                                        ; implicit-def: $vgpr66
	v_cndmask_b32_e64 v58, 0, 1, vcc_lo
	s_waitcnt lgkmcnt(0)
	v_dual_mov_b32 v57, v13 :: v_dual_mov_b32 v62, v60
	v_dual_mov_b32 v61, v59 :: v_dual_mov_b32 v64, v60
	v_mov_b32_e32 v63, v59
	v_cmpx_gt_u32_e64 s49, v15
	s_cbranch_execz .LBB10_146
; %bb.141:
	v_mov_b32_e32 v61, 0
	v_cmp_ne_u64_e32 vcc_lo, v[11:12], v[1:2]
	v_dual_mov_b32 v62, 0 :: v_dual_mov_b32 v59, v14
	v_or_b32_e32 v9, 13, v65
	s_mov_b32 s43, exec_lo
                                        ; implicit-def: $sgpr46
                                        ; implicit-def: $vgpr66
	v_cndmask_b32_e64 v60, 0, 1, vcc_lo
	s_delay_alu instid0(VALU_DEP_3) | instskip(NEXT) | instid1(VALU_DEP_3)
	v_dual_mov_b32 v64, v62 :: v_dual_mov_b32 v63, v61
	v_cmpx_gt_u32_e64 s49, v9
	s_cbranch_execz .LBB10_145
; %bb.142:
	ds_load_2addr_b32 v[9:10], v67 offset0:13 offset1:14
	v_cmp_ne_u64_e32 vcc_lo, v[1:2], v[3:4]
	v_mov_b32_e32 v63, 0
	v_or_b32_e32 v11, 14, v65
	v_mov_b32_e32 v64, 0
	s_mov_b32 s2, 0
	s_mov_b32 s46, exec_lo
	v_cndmask_b32_e64 v62, 0, 1, vcc_lo
                                        ; implicit-def: $sgpr3
                                        ; implicit-def: $vgpr66
	s_waitcnt lgkmcnt(0)
	v_mov_b32_e32 v61, v9
	v_cmpx_gt_u32_e64 s49, v11
	s_xor_b32 s46, exec_lo, s46
	s_cbranch_execz .LBB10_144
; %bb.143:
	ds_load_b32 v66, v67 offset:60
	v_or_b32_e32 v1, 15, v65
	v_cmp_ne_u64_e64 s3, v[3:4], v[5:6]
	v_cmp_ne_u64_e32 vcc_lo, v[5:6], v[7:8]
	v_mov_b32_e32 v63, v10
	s_delay_alu instid0(VALU_DEP_4) | instskip(NEXT) | instid1(VALU_DEP_4)
	v_cmp_gt_u32_e64 s2, s49, v1
	v_cndmask_b32_e64 v64, 0, 1, s3
	s_and_b32 s3, vcc_lo, exec_lo
	s_delay_alu instid0(VALU_DEP_2)
	s_and_b32 s2, s2, exec_lo
.LBB10_144:
	s_or_b32 exec_lo, exec_lo, s46
	s_delay_alu instid0(SALU_CYCLE_1)
	s_and_b32 s46, s3, exec_lo
	s_and_b32 s3, s2, exec_lo
.LBB10_145:
	s_or_b32 exec_lo, exec_lo, s43
	s_delay_alu instid0(SALU_CYCLE_1)
	s_and_b32 s2, s46, exec_lo
	s_and_b32 s3, s3, exec_lo
.LBB10_146:
	s_or_b32 exec_lo, exec_lo, s42
	s_delay_alu instid0(SALU_CYCLE_1)
	s_and_b32 s2, s2, exec_lo
	s_and_b32 s3, s3, exec_lo
.LBB10_147:
	s_or_b32 exec_lo, exec_lo, s19
	s_delay_alu instid0(SALU_CYCLE_1)
	s_and_b32 s2, s2, exec_lo
	s_and_b32 s3, s3, exec_lo
.LBB10_148:
	s_or_b32 exec_lo, exec_lo, s18
	s_delay_alu instid0(SALU_CYCLE_1)
	s_and_b32 s2, s2, exec_lo
	s_and_b32 s3, s3, exec_lo
.LBB10_149:
	s_or_b32 exec_lo, exec_lo, s17
	s_delay_alu instid0(SALU_CYCLE_1)
	s_and_b32 s2, s2, exec_lo
	s_and_b32 s3, s3, exec_lo
.LBB10_150:
	s_or_b32 exec_lo, exec_lo, s16
	s_delay_alu instid0(SALU_CYCLE_1)
	s_and_b32 s2, s2, exec_lo
	s_and_b32 s3, s3, exec_lo
.LBB10_151:
	s_or_b32 exec_lo, exec_lo, s14
	s_delay_alu instid0(SALU_CYCLE_1)
	s_and_b32 s2, s2, exec_lo
	s_and_b32 s3, s3, exec_lo
.LBB10_152:
	s_or_b32 exec_lo, exec_lo, s13
	s_delay_alu instid0(SALU_CYCLE_1)
	s_and_b32 s2, s2, exec_lo
	s_and_b32 s3, s3, exec_lo
.LBB10_153:
	s_or_b32 exec_lo, exec_lo, s12
	s_delay_alu instid0(SALU_CYCLE_1)
	s_and_b32 s2, s2, exec_lo
	s_and_b32 s3, s3, exec_lo
.LBB10_154:
	s_or_b32 exec_lo, exec_lo, s11
	s_delay_alu instid0(SALU_CYCLE_1)
	s_and_b32 s2, s2, exec_lo
	s_and_b32 s3, s3, exec_lo
.LBB10_155:
	s_or_b32 exec_lo, exec_lo, s10
	s_delay_alu instid0(SALU_CYCLE_1)
	s_and_b32 s2, s2, exec_lo
	s_and_b32 s3, s3, exec_lo
.LBB10_156:
	s_or_b32 exec_lo, exec_lo, s9
	s_delay_alu instid0(SALU_CYCLE_1)
	s_and_b32 s2, s2, exec_lo
	s_and_b32 s3, s3, exec_lo
.LBB10_157:
	s_or_b32 exec_lo, exec_lo, s8
	s_delay_alu instid0(SALU_CYCLE_1)
	s_and_b32 s2, s2, exec_lo
	s_and_b32 s3, s3, exec_lo
.LBB10_158:
	s_or_b32 exec_lo, exec_lo, s7
	s_delay_alu instid0(SALU_CYCLE_1)
	s_and_b32 vcc_lo, exec_lo, s6
	s_cbranch_vccz .LBB10_253
.LBB10_159:
	v_add_co_u32 v31, s2, s36, v0
	s_delay_alu instid0(VALU_DEP_1) | instskip(SKIP_1) | instid1(VALU_DEP_2)
	v_add_co_ci_u32_e64 v32, null, s37, 0, s2
	v_mov_b32_e32 v1, 0
	v_or_b32_e32 v2, s39, v32
	s_delay_alu instid0(VALU_DEP_1) | instskip(SKIP_1) | instid1(SALU_CYCLE_1)
	v_cmp_ne_u64_e32 vcc_lo, 0, v[1:2]
                                        ; implicit-def: $vgpr1_vgpr2
	s_and_saveexec_b32 s2, vcc_lo
	s_xor_b32 s3, exec_lo, s2
	s_cbranch_execz .LBB10_161
; %bb.160:
	v_cvt_f32_u32_e32 v1, s38
	v_cvt_f32_u32_e32 v2, s39
	s_sub_u32 s2, 0, s38
	s_subb_u32 s4, 0, s39
	s_delay_alu instid0(VALU_DEP_1) | instskip(NEXT) | instid1(VALU_DEP_1)
	v_fmamk_f32 v1, v2, 0x4f800000, v1
	v_rcp_f32_e32 v1, v1
	s_waitcnt_depctr 0xfff
	v_mul_f32_e32 v1, 0x5f7ffffc, v1
	s_delay_alu instid0(VALU_DEP_1) | instskip(NEXT) | instid1(VALU_DEP_1)
	v_mul_f32_e32 v2, 0x2f800000, v1
	v_trunc_f32_e32 v2, v2
	s_delay_alu instid0(VALU_DEP_1) | instskip(SKIP_1) | instid1(VALU_DEP_2)
	v_fmamk_f32 v1, v2, 0xcf800000, v1
	v_cvt_u32_f32_e32 v2, v2
	v_cvt_u32_f32_e32 v1, v1
	s_delay_alu instid0(VALU_DEP_2) | instskip(NEXT) | instid1(VALU_DEP_2)
	v_mul_lo_u32 v3, s2, v2
	v_mul_hi_u32 v4, s2, v1
	v_mul_lo_u32 v5, s4, v1
	s_delay_alu instid0(VALU_DEP_2) | instskip(SKIP_1) | instid1(VALU_DEP_2)
	v_add_nc_u32_e32 v3, v4, v3
	v_mul_lo_u32 v4, s2, v1
	v_add_nc_u32_e32 v3, v3, v5
	s_delay_alu instid0(VALU_DEP_2) | instskip(NEXT) | instid1(VALU_DEP_2)
	v_mul_hi_u32 v5, v1, v4
	v_mul_lo_u32 v6, v1, v3
	v_mul_hi_u32 v7, v1, v3
	v_mul_hi_u32 v8, v2, v4
	v_mul_lo_u32 v4, v2, v4
	v_mul_hi_u32 v9, v2, v3
	v_mul_lo_u32 v3, v2, v3
	v_add_co_u32 v5, vcc_lo, v5, v6
	v_add_co_ci_u32_e32 v6, vcc_lo, 0, v7, vcc_lo
	s_delay_alu instid0(VALU_DEP_2) | instskip(NEXT) | instid1(VALU_DEP_2)
	v_add_co_u32 v4, vcc_lo, v5, v4
	v_add_co_ci_u32_e32 v4, vcc_lo, v6, v8, vcc_lo
	v_add_co_ci_u32_e32 v5, vcc_lo, 0, v9, vcc_lo
	s_delay_alu instid0(VALU_DEP_2) | instskip(NEXT) | instid1(VALU_DEP_2)
	v_add_co_u32 v3, vcc_lo, v4, v3
	v_add_co_ci_u32_e32 v4, vcc_lo, 0, v5, vcc_lo
	s_delay_alu instid0(VALU_DEP_2) | instskip(NEXT) | instid1(VALU_DEP_2)
	v_add_co_u32 v1, vcc_lo, v1, v3
	v_add_co_ci_u32_e32 v2, vcc_lo, v2, v4, vcc_lo
	s_delay_alu instid0(VALU_DEP_2) | instskip(SKIP_1) | instid1(VALU_DEP_3)
	v_mul_hi_u32 v3, s2, v1
	v_mul_lo_u32 v5, s4, v1
	v_mul_lo_u32 v4, s2, v2
	s_delay_alu instid0(VALU_DEP_1) | instskip(SKIP_1) | instid1(VALU_DEP_2)
	v_add_nc_u32_e32 v3, v3, v4
	v_mul_lo_u32 v4, s2, v1
	v_add_nc_u32_e32 v3, v3, v5
	s_delay_alu instid0(VALU_DEP_2) | instskip(NEXT) | instid1(VALU_DEP_2)
	v_mul_hi_u32 v5, v1, v4
	v_mul_lo_u32 v6, v1, v3
	v_mul_hi_u32 v7, v1, v3
	v_mul_hi_u32 v8, v2, v4
	v_mul_lo_u32 v4, v2, v4
	v_mul_hi_u32 v9, v2, v3
	v_mul_lo_u32 v3, v2, v3
	v_add_co_u32 v5, vcc_lo, v5, v6
	v_add_co_ci_u32_e32 v6, vcc_lo, 0, v7, vcc_lo
	s_delay_alu instid0(VALU_DEP_2) | instskip(NEXT) | instid1(VALU_DEP_2)
	v_add_co_u32 v4, vcc_lo, v5, v4
	v_add_co_ci_u32_e32 v4, vcc_lo, v6, v8, vcc_lo
	v_add_co_ci_u32_e32 v5, vcc_lo, 0, v9, vcc_lo
	s_delay_alu instid0(VALU_DEP_2) | instskip(NEXT) | instid1(VALU_DEP_2)
	v_add_co_u32 v3, vcc_lo, v4, v3
	v_add_co_ci_u32_e32 v4, vcc_lo, 0, v5, vcc_lo
	s_delay_alu instid0(VALU_DEP_2) | instskip(NEXT) | instid1(VALU_DEP_2)
	v_add_co_u32 v5, vcc_lo, v1, v3
	v_add_co_ci_u32_e32 v7, vcc_lo, v2, v4, vcc_lo
	s_delay_alu instid0(VALU_DEP_2) | instskip(SKIP_1) | instid1(VALU_DEP_3)
	v_mul_hi_u32 v8, v31, v5
	v_mad_u64_u32 v[3:4], null, v32, v5, 0
	v_mad_u64_u32 v[1:2], null, v31, v7, 0
	;; [unrolled: 1-line block ×3, first 2 shown]
	s_delay_alu instid0(VALU_DEP_2) | instskip(NEXT) | instid1(VALU_DEP_3)
	v_add_co_u32 v1, vcc_lo, v8, v1
	v_add_co_ci_u32_e32 v2, vcc_lo, 0, v2, vcc_lo
	s_delay_alu instid0(VALU_DEP_2) | instskip(NEXT) | instid1(VALU_DEP_2)
	v_add_co_u32 v1, vcc_lo, v1, v3
	v_add_co_ci_u32_e32 v1, vcc_lo, v2, v4, vcc_lo
	v_add_co_ci_u32_e32 v2, vcc_lo, 0, v6, vcc_lo
	s_delay_alu instid0(VALU_DEP_2) | instskip(NEXT) | instid1(VALU_DEP_2)
	v_add_co_u32 v3, vcc_lo, v1, v5
	v_add_co_ci_u32_e32 v4, vcc_lo, 0, v2, vcc_lo
	s_delay_alu instid0(VALU_DEP_2) | instskip(SKIP_1) | instid1(VALU_DEP_3)
	v_mul_lo_u32 v5, s39, v3
	v_mad_u64_u32 v[1:2], null, s38, v3, 0
	v_mul_lo_u32 v6, s38, v4
	s_delay_alu instid0(VALU_DEP_2) | instskip(NEXT) | instid1(VALU_DEP_2)
	v_sub_co_u32 v1, vcc_lo, v31, v1
	v_add3_u32 v2, v2, v6, v5
	s_delay_alu instid0(VALU_DEP_1) | instskip(NEXT) | instid1(VALU_DEP_1)
	v_sub_nc_u32_e32 v5, v32, v2
	v_subrev_co_ci_u32_e64 v5, s2, s39, v5, vcc_lo
	v_add_co_u32 v6, s2, v3, 2
	s_delay_alu instid0(VALU_DEP_1) | instskip(SKIP_3) | instid1(VALU_DEP_3)
	v_add_co_ci_u32_e64 v7, s2, 0, v4, s2
	v_sub_co_u32 v8, s2, v1, s38
	v_sub_co_ci_u32_e32 v2, vcc_lo, v32, v2, vcc_lo
	v_subrev_co_ci_u32_e64 v5, s2, 0, v5, s2
	v_cmp_le_u32_e32 vcc_lo, s38, v8
	s_delay_alu instid0(VALU_DEP_3) | instskip(SKIP_1) | instid1(VALU_DEP_4)
	v_cmp_eq_u32_e64 s2, s39, v2
	v_cndmask_b32_e64 v8, 0, -1, vcc_lo
	v_cmp_le_u32_e32 vcc_lo, s39, v5
	v_cndmask_b32_e64 v9, 0, -1, vcc_lo
	v_cmp_le_u32_e32 vcc_lo, s38, v1
	;; [unrolled: 2-line block ×3, first 2 shown]
	v_cndmask_b32_e64 v10, 0, -1, vcc_lo
	v_cmp_eq_u32_e32 vcc_lo, s39, v5
	s_delay_alu instid0(VALU_DEP_2) | instskip(SKIP_3) | instid1(VALU_DEP_3)
	v_cndmask_b32_e64 v1, v10, v1, s2
	v_cndmask_b32_e32 v5, v9, v8, vcc_lo
	v_add_co_u32 v8, vcc_lo, v3, 1
	v_add_co_ci_u32_e32 v9, vcc_lo, 0, v4, vcc_lo
	v_cmp_ne_u32_e32 vcc_lo, 0, v5
	s_delay_alu instid0(VALU_DEP_2) | instskip(SKIP_1) | instid1(VALU_DEP_2)
	v_dual_cndmask_b32 v2, v9, v7 :: v_dual_cndmask_b32 v5, v8, v6
	v_cmp_ne_u32_e32 vcc_lo, 0, v1
	v_dual_cndmask_b32 v2, v4, v2 :: v_dual_cndmask_b32 v1, v3, v5
.LBB10_161:
	s_and_not1_saveexec_b32 s2, s3
	s_cbranch_execz .LBB10_163
; %bb.162:
	v_cvt_f32_u32_e32 v1, s38
	s_sub_i32 s3, 0, s38
	s_delay_alu instid0(VALU_DEP_1) | instskip(SKIP_2) | instid1(VALU_DEP_1)
	v_rcp_iflag_f32_e32 v1, v1
	s_waitcnt_depctr 0xfff
	v_mul_f32_e32 v1, 0x4f7ffffe, v1
	v_cvt_u32_f32_e32 v1, v1
	s_delay_alu instid0(VALU_DEP_1) | instskip(NEXT) | instid1(VALU_DEP_1)
	v_mul_lo_u32 v2, s3, v1
	v_mul_hi_u32 v2, v1, v2
	s_delay_alu instid0(VALU_DEP_1) | instskip(NEXT) | instid1(VALU_DEP_1)
	v_add_nc_u32_e32 v1, v1, v2
	v_mul_hi_u32 v1, v31, v1
	s_delay_alu instid0(VALU_DEP_1) | instskip(SKIP_1) | instid1(VALU_DEP_2)
	v_mul_lo_u32 v2, v1, s38
	v_add_nc_u32_e32 v3, 1, v1
	v_sub_nc_u32_e32 v2, v31, v2
	s_delay_alu instid0(VALU_DEP_1) | instskip(SKIP_1) | instid1(VALU_DEP_2)
	v_subrev_nc_u32_e32 v4, s38, v2
	v_cmp_le_u32_e32 vcc_lo, s38, v2
	v_dual_cndmask_b32 v2, v2, v4 :: v_dual_cndmask_b32 v1, v1, v3
	s_delay_alu instid0(VALU_DEP_1) | instskip(NEXT) | instid1(VALU_DEP_2)
	v_cmp_le_u32_e32 vcc_lo, s38, v2
	v_dual_mov_b32 v2, 0 :: v_dual_add_nc_u32 v3, 1, v1
	s_delay_alu instid0(VALU_DEP_1)
	v_cndmask_b32_e32 v1, v1, v3, vcc_lo
.LBB10_163:
	s_or_b32 exec_lo, exec_lo, s2
	v_add_co_u32 v5, vcc_lo, 0x100, v31
	v_add_co_ci_u32_e32 v6, vcc_lo, 0, v32, vcc_lo
	v_mov_b32_e32 v3, 0
	s_delay_alu instid0(VALU_DEP_2) | instskip(NEXT) | instid1(VALU_DEP_1)
	v_or_b32_e32 v4, s39, v6
	v_cmp_ne_u64_e32 vcc_lo, 0, v[3:4]
                                        ; implicit-def: $vgpr3_vgpr4
	s_and_saveexec_b32 s2, vcc_lo
	s_delay_alu instid0(SALU_CYCLE_1)
	s_xor_b32 s3, exec_lo, s2
	s_cbranch_execz .LBB10_165
; %bb.164:
	v_cvt_f32_u32_e32 v3, s38
	v_cvt_f32_u32_e32 v4, s39
	s_sub_u32 s2, 0, s38
	s_subb_u32 s4, 0, s39
	s_delay_alu instid0(VALU_DEP_1) | instskip(NEXT) | instid1(VALU_DEP_1)
	v_fmamk_f32 v3, v4, 0x4f800000, v3
	v_rcp_f32_e32 v3, v3
	s_waitcnt_depctr 0xfff
	v_mul_f32_e32 v3, 0x5f7ffffc, v3
	s_delay_alu instid0(VALU_DEP_1) | instskip(NEXT) | instid1(VALU_DEP_1)
	v_mul_f32_e32 v4, 0x2f800000, v3
	v_trunc_f32_e32 v4, v4
	s_delay_alu instid0(VALU_DEP_1) | instskip(SKIP_1) | instid1(VALU_DEP_2)
	v_fmamk_f32 v3, v4, 0xcf800000, v3
	v_cvt_u32_f32_e32 v4, v4
	v_cvt_u32_f32_e32 v3, v3
	s_delay_alu instid0(VALU_DEP_2) | instskip(NEXT) | instid1(VALU_DEP_2)
	v_mul_lo_u32 v7, s2, v4
	v_mul_hi_u32 v8, s2, v3
	v_mul_lo_u32 v9, s4, v3
	s_delay_alu instid0(VALU_DEP_2) | instskip(SKIP_1) | instid1(VALU_DEP_2)
	v_add_nc_u32_e32 v7, v8, v7
	v_mul_lo_u32 v8, s2, v3
	v_add_nc_u32_e32 v7, v7, v9
	s_delay_alu instid0(VALU_DEP_2) | instskip(NEXT) | instid1(VALU_DEP_2)
	v_mul_hi_u32 v9, v3, v8
	v_mul_lo_u32 v10, v3, v7
	v_mul_hi_u32 v11, v3, v7
	v_mul_hi_u32 v12, v4, v8
	v_mul_lo_u32 v8, v4, v8
	v_mul_hi_u32 v13, v4, v7
	v_mul_lo_u32 v7, v4, v7
	v_add_co_u32 v9, vcc_lo, v9, v10
	v_add_co_ci_u32_e32 v10, vcc_lo, 0, v11, vcc_lo
	s_delay_alu instid0(VALU_DEP_2) | instskip(NEXT) | instid1(VALU_DEP_2)
	v_add_co_u32 v8, vcc_lo, v9, v8
	v_add_co_ci_u32_e32 v8, vcc_lo, v10, v12, vcc_lo
	v_add_co_ci_u32_e32 v9, vcc_lo, 0, v13, vcc_lo
	s_delay_alu instid0(VALU_DEP_2) | instskip(NEXT) | instid1(VALU_DEP_2)
	v_add_co_u32 v7, vcc_lo, v8, v7
	v_add_co_ci_u32_e32 v8, vcc_lo, 0, v9, vcc_lo
	s_delay_alu instid0(VALU_DEP_2) | instskip(NEXT) | instid1(VALU_DEP_2)
	v_add_co_u32 v3, vcc_lo, v3, v7
	v_add_co_ci_u32_e32 v4, vcc_lo, v4, v8, vcc_lo
	s_delay_alu instid0(VALU_DEP_2) | instskip(SKIP_1) | instid1(VALU_DEP_3)
	v_mul_hi_u32 v7, s2, v3
	v_mul_lo_u32 v9, s4, v3
	v_mul_lo_u32 v8, s2, v4
	s_delay_alu instid0(VALU_DEP_1) | instskip(SKIP_1) | instid1(VALU_DEP_2)
	v_add_nc_u32_e32 v7, v7, v8
	v_mul_lo_u32 v8, s2, v3
	v_add_nc_u32_e32 v7, v7, v9
	s_delay_alu instid0(VALU_DEP_2) | instskip(NEXT) | instid1(VALU_DEP_2)
	v_mul_hi_u32 v9, v3, v8
	v_mul_lo_u32 v10, v3, v7
	v_mul_hi_u32 v11, v3, v7
	v_mul_hi_u32 v12, v4, v8
	v_mul_lo_u32 v8, v4, v8
	v_mul_hi_u32 v13, v4, v7
	v_mul_lo_u32 v7, v4, v7
	v_add_co_u32 v9, vcc_lo, v9, v10
	v_add_co_ci_u32_e32 v10, vcc_lo, 0, v11, vcc_lo
	s_delay_alu instid0(VALU_DEP_2) | instskip(NEXT) | instid1(VALU_DEP_2)
	v_add_co_u32 v8, vcc_lo, v9, v8
	v_add_co_ci_u32_e32 v8, vcc_lo, v10, v12, vcc_lo
	v_add_co_ci_u32_e32 v9, vcc_lo, 0, v13, vcc_lo
	s_delay_alu instid0(VALU_DEP_2) | instskip(NEXT) | instid1(VALU_DEP_2)
	v_add_co_u32 v7, vcc_lo, v8, v7
	v_add_co_ci_u32_e32 v8, vcc_lo, 0, v9, vcc_lo
	s_delay_alu instid0(VALU_DEP_2) | instskip(NEXT) | instid1(VALU_DEP_2)
	v_add_co_u32 v9, vcc_lo, v3, v7
	v_add_co_ci_u32_e32 v11, vcc_lo, v4, v8, vcc_lo
	s_delay_alu instid0(VALU_DEP_2) | instskip(SKIP_1) | instid1(VALU_DEP_3)
	v_mul_hi_u32 v12, v5, v9
	v_mad_u64_u32 v[7:8], null, v6, v9, 0
	v_mad_u64_u32 v[3:4], null, v5, v11, 0
	;; [unrolled: 1-line block ×3, first 2 shown]
	s_delay_alu instid0(VALU_DEP_2) | instskip(NEXT) | instid1(VALU_DEP_3)
	v_add_co_u32 v3, vcc_lo, v12, v3
	v_add_co_ci_u32_e32 v4, vcc_lo, 0, v4, vcc_lo
	s_delay_alu instid0(VALU_DEP_2) | instskip(NEXT) | instid1(VALU_DEP_2)
	v_add_co_u32 v3, vcc_lo, v3, v7
	v_add_co_ci_u32_e32 v3, vcc_lo, v4, v8, vcc_lo
	v_add_co_ci_u32_e32 v4, vcc_lo, 0, v10, vcc_lo
	s_delay_alu instid0(VALU_DEP_2) | instskip(NEXT) | instid1(VALU_DEP_2)
	v_add_co_u32 v7, vcc_lo, v3, v9
	v_add_co_ci_u32_e32 v8, vcc_lo, 0, v4, vcc_lo
	s_delay_alu instid0(VALU_DEP_2) | instskip(SKIP_1) | instid1(VALU_DEP_3)
	v_mul_lo_u32 v9, s39, v7
	v_mad_u64_u32 v[3:4], null, s38, v7, 0
	v_mul_lo_u32 v10, s38, v8
	s_delay_alu instid0(VALU_DEP_2) | instskip(NEXT) | instid1(VALU_DEP_2)
	v_sub_co_u32 v3, vcc_lo, v5, v3
	v_add3_u32 v4, v4, v10, v9
	s_delay_alu instid0(VALU_DEP_1) | instskip(NEXT) | instid1(VALU_DEP_1)
	v_sub_nc_u32_e32 v9, v6, v4
	v_subrev_co_ci_u32_e64 v5, s2, s39, v9, vcc_lo
	v_add_co_u32 v9, s2, v7, 2
	s_delay_alu instid0(VALU_DEP_1) | instskip(SKIP_3) | instid1(VALU_DEP_3)
	v_add_co_ci_u32_e64 v10, s2, 0, v8, s2
	v_sub_co_u32 v11, s2, v3, s38
	v_sub_co_ci_u32_e32 v4, vcc_lo, v6, v4, vcc_lo
	v_subrev_co_ci_u32_e64 v5, s2, 0, v5, s2
	v_cmp_le_u32_e32 vcc_lo, s38, v11
	s_delay_alu instid0(VALU_DEP_3) | instskip(SKIP_1) | instid1(VALU_DEP_4)
	v_cmp_eq_u32_e64 s2, s39, v4
	v_cndmask_b32_e64 v6, 0, -1, vcc_lo
	v_cmp_le_u32_e32 vcc_lo, s39, v5
	v_cndmask_b32_e64 v11, 0, -1, vcc_lo
	v_cmp_le_u32_e32 vcc_lo, s38, v3
	;; [unrolled: 2-line block ×3, first 2 shown]
	v_cndmask_b32_e64 v12, 0, -1, vcc_lo
	v_cmp_eq_u32_e32 vcc_lo, s39, v5
	s_delay_alu instid0(VALU_DEP_2) | instskip(SKIP_3) | instid1(VALU_DEP_3)
	v_cndmask_b32_e64 v3, v12, v3, s2
	v_cndmask_b32_e32 v5, v11, v6, vcc_lo
	v_add_co_u32 v6, vcc_lo, v7, 1
	v_add_co_ci_u32_e32 v11, vcc_lo, 0, v8, vcc_lo
	v_cmp_ne_u32_e32 vcc_lo, 0, v5
	s_delay_alu instid0(VALU_DEP_2) | instskip(SKIP_1) | instid1(VALU_DEP_2)
	v_dual_cndmask_b32 v4, v11, v10 :: v_dual_cndmask_b32 v5, v6, v9
	v_cmp_ne_u32_e32 vcc_lo, 0, v3
	v_dual_cndmask_b32 v4, v8, v4 :: v_dual_cndmask_b32 v3, v7, v5
                                        ; implicit-def: $vgpr5
.LBB10_165:
	s_and_not1_saveexec_b32 s2, s3
	s_cbranch_execz .LBB10_167
; %bb.166:
	v_cvt_f32_u32_e32 v3, s38
	s_sub_i32 s3, 0, s38
	s_delay_alu instid0(VALU_DEP_1) | instskip(SKIP_2) | instid1(VALU_DEP_1)
	v_rcp_iflag_f32_e32 v3, v3
	s_waitcnt_depctr 0xfff
	v_mul_f32_e32 v3, 0x4f7ffffe, v3
	v_cvt_u32_f32_e32 v3, v3
	s_delay_alu instid0(VALU_DEP_1) | instskip(NEXT) | instid1(VALU_DEP_1)
	v_mul_lo_u32 v4, s3, v3
	v_mul_hi_u32 v4, v3, v4
	s_delay_alu instid0(VALU_DEP_1) | instskip(NEXT) | instid1(VALU_DEP_1)
	v_add_nc_u32_e32 v3, v3, v4
	v_mul_hi_u32 v3, v5, v3
	s_delay_alu instid0(VALU_DEP_1) | instskip(NEXT) | instid1(VALU_DEP_1)
	v_mul_lo_u32 v4, v3, s38
	v_sub_nc_u32_e32 v4, v5, v4
	v_add_nc_u32_e32 v5, 1, v3
	s_delay_alu instid0(VALU_DEP_2) | instskip(SKIP_1) | instid1(VALU_DEP_2)
	v_subrev_nc_u32_e32 v6, s38, v4
	v_cmp_le_u32_e32 vcc_lo, s38, v4
	v_dual_cndmask_b32 v4, v4, v6 :: v_dual_cndmask_b32 v3, v3, v5
	s_delay_alu instid0(VALU_DEP_1) | instskip(NEXT) | instid1(VALU_DEP_2)
	v_cmp_le_u32_e32 vcc_lo, s38, v4
	v_dual_mov_b32 v4, 0 :: v_dual_add_nc_u32 v5, 1, v3
	s_delay_alu instid0(VALU_DEP_1)
	v_cndmask_b32_e32 v3, v3, v5, vcc_lo
.LBB10_167:
	s_or_b32 exec_lo, exec_lo, s2
	v_add_co_u32 v7, vcc_lo, 0x200, v31
	v_add_co_ci_u32_e32 v8, vcc_lo, 0, v32, vcc_lo
	v_mov_b32_e32 v5, 0
	s_delay_alu instid0(VALU_DEP_2) | instskip(NEXT) | instid1(VALU_DEP_1)
	v_or_b32_e32 v6, s39, v8
	v_cmp_ne_u64_e32 vcc_lo, 0, v[5:6]
                                        ; implicit-def: $vgpr5_vgpr6
	s_and_saveexec_b32 s2, vcc_lo
	s_delay_alu instid0(SALU_CYCLE_1)
	s_xor_b32 s3, exec_lo, s2
	s_cbranch_execz .LBB10_169
; %bb.168:
	v_cvt_f32_u32_e32 v5, s38
	v_cvt_f32_u32_e32 v6, s39
	s_sub_u32 s2, 0, s38
	s_subb_u32 s4, 0, s39
	s_delay_alu instid0(VALU_DEP_1) | instskip(NEXT) | instid1(VALU_DEP_1)
	v_fmamk_f32 v5, v6, 0x4f800000, v5
	v_rcp_f32_e32 v5, v5
	s_waitcnt_depctr 0xfff
	v_mul_f32_e32 v5, 0x5f7ffffc, v5
	s_delay_alu instid0(VALU_DEP_1) | instskip(NEXT) | instid1(VALU_DEP_1)
	v_mul_f32_e32 v6, 0x2f800000, v5
	v_trunc_f32_e32 v6, v6
	s_delay_alu instid0(VALU_DEP_1) | instskip(SKIP_1) | instid1(VALU_DEP_2)
	v_fmamk_f32 v5, v6, 0xcf800000, v5
	v_cvt_u32_f32_e32 v6, v6
	v_cvt_u32_f32_e32 v5, v5
	s_delay_alu instid0(VALU_DEP_2) | instskip(NEXT) | instid1(VALU_DEP_2)
	v_mul_lo_u32 v9, s2, v6
	v_mul_hi_u32 v10, s2, v5
	v_mul_lo_u32 v11, s4, v5
	s_delay_alu instid0(VALU_DEP_2) | instskip(SKIP_1) | instid1(VALU_DEP_2)
	v_add_nc_u32_e32 v9, v10, v9
	v_mul_lo_u32 v10, s2, v5
	v_add_nc_u32_e32 v9, v9, v11
	s_delay_alu instid0(VALU_DEP_2) | instskip(NEXT) | instid1(VALU_DEP_2)
	v_mul_hi_u32 v11, v5, v10
	v_mul_lo_u32 v12, v5, v9
	v_mul_hi_u32 v13, v5, v9
	v_mul_hi_u32 v14, v6, v10
	v_mul_lo_u32 v10, v6, v10
	v_mul_hi_u32 v15, v6, v9
	v_mul_lo_u32 v9, v6, v9
	v_add_co_u32 v11, vcc_lo, v11, v12
	v_add_co_ci_u32_e32 v12, vcc_lo, 0, v13, vcc_lo
	s_delay_alu instid0(VALU_DEP_2) | instskip(NEXT) | instid1(VALU_DEP_2)
	v_add_co_u32 v10, vcc_lo, v11, v10
	v_add_co_ci_u32_e32 v10, vcc_lo, v12, v14, vcc_lo
	v_add_co_ci_u32_e32 v11, vcc_lo, 0, v15, vcc_lo
	s_delay_alu instid0(VALU_DEP_2) | instskip(NEXT) | instid1(VALU_DEP_2)
	v_add_co_u32 v9, vcc_lo, v10, v9
	v_add_co_ci_u32_e32 v10, vcc_lo, 0, v11, vcc_lo
	s_delay_alu instid0(VALU_DEP_2) | instskip(NEXT) | instid1(VALU_DEP_2)
	v_add_co_u32 v5, vcc_lo, v5, v9
	v_add_co_ci_u32_e32 v6, vcc_lo, v6, v10, vcc_lo
	s_delay_alu instid0(VALU_DEP_2) | instskip(SKIP_1) | instid1(VALU_DEP_3)
	v_mul_hi_u32 v9, s2, v5
	v_mul_lo_u32 v11, s4, v5
	v_mul_lo_u32 v10, s2, v6
	s_delay_alu instid0(VALU_DEP_1) | instskip(SKIP_1) | instid1(VALU_DEP_2)
	v_add_nc_u32_e32 v9, v9, v10
	v_mul_lo_u32 v10, s2, v5
	v_add_nc_u32_e32 v9, v9, v11
	s_delay_alu instid0(VALU_DEP_2) | instskip(NEXT) | instid1(VALU_DEP_2)
	v_mul_hi_u32 v11, v5, v10
	v_mul_lo_u32 v12, v5, v9
	v_mul_hi_u32 v13, v5, v9
	v_mul_hi_u32 v14, v6, v10
	v_mul_lo_u32 v10, v6, v10
	v_mul_hi_u32 v15, v6, v9
	v_mul_lo_u32 v9, v6, v9
	v_add_co_u32 v11, vcc_lo, v11, v12
	v_add_co_ci_u32_e32 v12, vcc_lo, 0, v13, vcc_lo
	s_delay_alu instid0(VALU_DEP_2) | instskip(NEXT) | instid1(VALU_DEP_2)
	v_add_co_u32 v10, vcc_lo, v11, v10
	v_add_co_ci_u32_e32 v10, vcc_lo, v12, v14, vcc_lo
	v_add_co_ci_u32_e32 v11, vcc_lo, 0, v15, vcc_lo
	s_delay_alu instid0(VALU_DEP_2) | instskip(NEXT) | instid1(VALU_DEP_2)
	v_add_co_u32 v9, vcc_lo, v10, v9
	v_add_co_ci_u32_e32 v10, vcc_lo, 0, v11, vcc_lo
	s_delay_alu instid0(VALU_DEP_2) | instskip(NEXT) | instid1(VALU_DEP_2)
	v_add_co_u32 v11, vcc_lo, v5, v9
	v_add_co_ci_u32_e32 v13, vcc_lo, v6, v10, vcc_lo
	s_delay_alu instid0(VALU_DEP_2) | instskip(SKIP_1) | instid1(VALU_DEP_3)
	v_mul_hi_u32 v14, v7, v11
	v_mad_u64_u32 v[9:10], null, v8, v11, 0
	v_mad_u64_u32 v[5:6], null, v7, v13, 0
	;; [unrolled: 1-line block ×3, first 2 shown]
	s_delay_alu instid0(VALU_DEP_2) | instskip(NEXT) | instid1(VALU_DEP_3)
	v_add_co_u32 v5, vcc_lo, v14, v5
	v_add_co_ci_u32_e32 v6, vcc_lo, 0, v6, vcc_lo
	s_delay_alu instid0(VALU_DEP_2) | instskip(NEXT) | instid1(VALU_DEP_2)
	v_add_co_u32 v5, vcc_lo, v5, v9
	v_add_co_ci_u32_e32 v5, vcc_lo, v6, v10, vcc_lo
	v_add_co_ci_u32_e32 v6, vcc_lo, 0, v12, vcc_lo
	s_delay_alu instid0(VALU_DEP_2) | instskip(NEXT) | instid1(VALU_DEP_2)
	v_add_co_u32 v9, vcc_lo, v5, v11
	v_add_co_ci_u32_e32 v10, vcc_lo, 0, v6, vcc_lo
	s_delay_alu instid0(VALU_DEP_2) | instskip(SKIP_1) | instid1(VALU_DEP_3)
	v_mul_lo_u32 v11, s39, v9
	v_mad_u64_u32 v[5:6], null, s38, v9, 0
	v_mul_lo_u32 v12, s38, v10
	s_delay_alu instid0(VALU_DEP_2) | instskip(NEXT) | instid1(VALU_DEP_2)
	v_sub_co_u32 v5, vcc_lo, v7, v5
	v_add3_u32 v6, v6, v12, v11
	s_delay_alu instid0(VALU_DEP_1) | instskip(NEXT) | instid1(VALU_DEP_1)
	v_sub_nc_u32_e32 v11, v8, v6
	v_subrev_co_ci_u32_e64 v7, s2, s39, v11, vcc_lo
	v_add_co_u32 v11, s2, v9, 2
	s_delay_alu instid0(VALU_DEP_1) | instskip(SKIP_3) | instid1(VALU_DEP_3)
	v_add_co_ci_u32_e64 v12, s2, 0, v10, s2
	v_sub_co_u32 v13, s2, v5, s38
	v_sub_co_ci_u32_e32 v6, vcc_lo, v8, v6, vcc_lo
	v_subrev_co_ci_u32_e64 v7, s2, 0, v7, s2
	v_cmp_le_u32_e32 vcc_lo, s38, v13
	s_delay_alu instid0(VALU_DEP_3) | instskip(SKIP_1) | instid1(VALU_DEP_4)
	v_cmp_eq_u32_e64 s2, s39, v6
	v_cndmask_b32_e64 v8, 0, -1, vcc_lo
	v_cmp_le_u32_e32 vcc_lo, s39, v7
	v_cndmask_b32_e64 v13, 0, -1, vcc_lo
	v_cmp_le_u32_e32 vcc_lo, s38, v5
	;; [unrolled: 2-line block ×3, first 2 shown]
	v_cndmask_b32_e64 v14, 0, -1, vcc_lo
	v_cmp_eq_u32_e32 vcc_lo, s39, v7
	s_delay_alu instid0(VALU_DEP_2) | instskip(SKIP_3) | instid1(VALU_DEP_3)
	v_cndmask_b32_e64 v5, v14, v5, s2
	v_cndmask_b32_e32 v7, v13, v8, vcc_lo
	v_add_co_u32 v8, vcc_lo, v9, 1
	v_add_co_ci_u32_e32 v13, vcc_lo, 0, v10, vcc_lo
	v_cmp_ne_u32_e32 vcc_lo, 0, v7
	s_delay_alu instid0(VALU_DEP_2) | instskip(SKIP_1) | instid1(VALU_DEP_2)
	v_dual_cndmask_b32 v6, v13, v12 :: v_dual_cndmask_b32 v7, v8, v11
	v_cmp_ne_u32_e32 vcc_lo, 0, v5
	v_dual_cndmask_b32 v6, v10, v6 :: v_dual_cndmask_b32 v5, v9, v7
                                        ; implicit-def: $vgpr7
.LBB10_169:
	s_and_not1_saveexec_b32 s2, s3
	s_cbranch_execz .LBB10_171
; %bb.170:
	v_cvt_f32_u32_e32 v5, s38
	s_sub_i32 s3, 0, s38
	s_delay_alu instid0(VALU_DEP_1) | instskip(SKIP_2) | instid1(VALU_DEP_1)
	v_rcp_iflag_f32_e32 v5, v5
	s_waitcnt_depctr 0xfff
	v_mul_f32_e32 v5, 0x4f7ffffe, v5
	v_cvt_u32_f32_e32 v5, v5
	s_delay_alu instid0(VALU_DEP_1) | instskip(NEXT) | instid1(VALU_DEP_1)
	v_mul_lo_u32 v6, s3, v5
	v_mul_hi_u32 v6, v5, v6
	s_delay_alu instid0(VALU_DEP_1) | instskip(NEXT) | instid1(VALU_DEP_1)
	v_add_nc_u32_e32 v5, v5, v6
	v_mul_hi_u32 v5, v7, v5
	s_delay_alu instid0(VALU_DEP_1) | instskip(NEXT) | instid1(VALU_DEP_1)
	v_mul_lo_u32 v6, v5, s38
	v_sub_nc_u32_e32 v6, v7, v6
	v_add_nc_u32_e32 v7, 1, v5
	s_delay_alu instid0(VALU_DEP_2) | instskip(SKIP_1) | instid1(VALU_DEP_2)
	v_subrev_nc_u32_e32 v8, s38, v6
	v_cmp_le_u32_e32 vcc_lo, s38, v6
	v_dual_cndmask_b32 v6, v6, v8 :: v_dual_cndmask_b32 v5, v5, v7
	s_delay_alu instid0(VALU_DEP_1) | instskip(NEXT) | instid1(VALU_DEP_2)
	v_cmp_le_u32_e32 vcc_lo, s38, v6
	v_dual_mov_b32 v6, 0 :: v_dual_add_nc_u32 v7, 1, v5
	s_delay_alu instid0(VALU_DEP_1)
	v_cndmask_b32_e32 v5, v5, v7, vcc_lo
.LBB10_171:
	s_or_b32 exec_lo, exec_lo, s2
	v_add_co_u32 v9, vcc_lo, 0x300, v31
	v_add_co_ci_u32_e32 v10, vcc_lo, 0, v32, vcc_lo
	v_mov_b32_e32 v7, 0
	s_delay_alu instid0(VALU_DEP_2) | instskip(NEXT) | instid1(VALU_DEP_1)
	v_or_b32_e32 v8, s39, v10
	v_cmp_ne_u64_e32 vcc_lo, 0, v[7:8]
                                        ; implicit-def: $vgpr7_vgpr8
	s_and_saveexec_b32 s2, vcc_lo
	s_delay_alu instid0(SALU_CYCLE_1)
	s_xor_b32 s3, exec_lo, s2
	s_cbranch_execz .LBB10_173
; %bb.172:
	v_cvt_f32_u32_e32 v7, s38
	v_cvt_f32_u32_e32 v8, s39
	s_sub_u32 s2, 0, s38
	s_subb_u32 s4, 0, s39
	s_delay_alu instid0(VALU_DEP_1) | instskip(NEXT) | instid1(VALU_DEP_1)
	v_fmamk_f32 v7, v8, 0x4f800000, v7
	v_rcp_f32_e32 v7, v7
	s_waitcnt_depctr 0xfff
	v_mul_f32_e32 v7, 0x5f7ffffc, v7
	s_delay_alu instid0(VALU_DEP_1) | instskip(NEXT) | instid1(VALU_DEP_1)
	v_mul_f32_e32 v8, 0x2f800000, v7
	v_trunc_f32_e32 v8, v8
	s_delay_alu instid0(VALU_DEP_1) | instskip(SKIP_1) | instid1(VALU_DEP_2)
	v_fmamk_f32 v7, v8, 0xcf800000, v7
	v_cvt_u32_f32_e32 v8, v8
	v_cvt_u32_f32_e32 v7, v7
	s_delay_alu instid0(VALU_DEP_2) | instskip(NEXT) | instid1(VALU_DEP_2)
	v_mul_lo_u32 v11, s2, v8
	v_mul_hi_u32 v12, s2, v7
	v_mul_lo_u32 v13, s4, v7
	s_delay_alu instid0(VALU_DEP_2) | instskip(SKIP_1) | instid1(VALU_DEP_2)
	v_add_nc_u32_e32 v11, v12, v11
	v_mul_lo_u32 v12, s2, v7
	v_add_nc_u32_e32 v11, v11, v13
	s_delay_alu instid0(VALU_DEP_2) | instskip(NEXT) | instid1(VALU_DEP_2)
	v_mul_hi_u32 v13, v7, v12
	v_mul_lo_u32 v14, v7, v11
	v_mul_hi_u32 v15, v7, v11
	v_mul_hi_u32 v16, v8, v12
	v_mul_lo_u32 v12, v8, v12
	v_mul_hi_u32 v17, v8, v11
	v_mul_lo_u32 v11, v8, v11
	v_add_co_u32 v13, vcc_lo, v13, v14
	v_add_co_ci_u32_e32 v14, vcc_lo, 0, v15, vcc_lo
	s_delay_alu instid0(VALU_DEP_2) | instskip(NEXT) | instid1(VALU_DEP_2)
	v_add_co_u32 v12, vcc_lo, v13, v12
	v_add_co_ci_u32_e32 v12, vcc_lo, v14, v16, vcc_lo
	v_add_co_ci_u32_e32 v13, vcc_lo, 0, v17, vcc_lo
	s_delay_alu instid0(VALU_DEP_2) | instskip(NEXT) | instid1(VALU_DEP_2)
	v_add_co_u32 v11, vcc_lo, v12, v11
	v_add_co_ci_u32_e32 v12, vcc_lo, 0, v13, vcc_lo
	s_delay_alu instid0(VALU_DEP_2) | instskip(NEXT) | instid1(VALU_DEP_2)
	v_add_co_u32 v7, vcc_lo, v7, v11
	v_add_co_ci_u32_e32 v8, vcc_lo, v8, v12, vcc_lo
	s_delay_alu instid0(VALU_DEP_2) | instskip(SKIP_1) | instid1(VALU_DEP_3)
	v_mul_hi_u32 v11, s2, v7
	v_mul_lo_u32 v13, s4, v7
	v_mul_lo_u32 v12, s2, v8
	s_delay_alu instid0(VALU_DEP_1) | instskip(SKIP_1) | instid1(VALU_DEP_2)
	v_add_nc_u32_e32 v11, v11, v12
	v_mul_lo_u32 v12, s2, v7
	v_add_nc_u32_e32 v11, v11, v13
	s_delay_alu instid0(VALU_DEP_2) | instskip(NEXT) | instid1(VALU_DEP_2)
	v_mul_hi_u32 v13, v7, v12
	v_mul_lo_u32 v14, v7, v11
	v_mul_hi_u32 v15, v7, v11
	v_mul_hi_u32 v16, v8, v12
	v_mul_lo_u32 v12, v8, v12
	v_mul_hi_u32 v17, v8, v11
	v_mul_lo_u32 v11, v8, v11
	v_add_co_u32 v13, vcc_lo, v13, v14
	v_add_co_ci_u32_e32 v14, vcc_lo, 0, v15, vcc_lo
	s_delay_alu instid0(VALU_DEP_2) | instskip(NEXT) | instid1(VALU_DEP_2)
	v_add_co_u32 v12, vcc_lo, v13, v12
	v_add_co_ci_u32_e32 v12, vcc_lo, v14, v16, vcc_lo
	v_add_co_ci_u32_e32 v13, vcc_lo, 0, v17, vcc_lo
	s_delay_alu instid0(VALU_DEP_2) | instskip(NEXT) | instid1(VALU_DEP_2)
	v_add_co_u32 v11, vcc_lo, v12, v11
	v_add_co_ci_u32_e32 v12, vcc_lo, 0, v13, vcc_lo
	s_delay_alu instid0(VALU_DEP_2) | instskip(NEXT) | instid1(VALU_DEP_2)
	v_add_co_u32 v13, vcc_lo, v7, v11
	v_add_co_ci_u32_e32 v15, vcc_lo, v8, v12, vcc_lo
	s_delay_alu instid0(VALU_DEP_2) | instskip(SKIP_1) | instid1(VALU_DEP_3)
	v_mul_hi_u32 v16, v9, v13
	v_mad_u64_u32 v[11:12], null, v10, v13, 0
	v_mad_u64_u32 v[7:8], null, v9, v15, 0
	;; [unrolled: 1-line block ×3, first 2 shown]
	s_delay_alu instid0(VALU_DEP_2) | instskip(NEXT) | instid1(VALU_DEP_3)
	v_add_co_u32 v7, vcc_lo, v16, v7
	v_add_co_ci_u32_e32 v8, vcc_lo, 0, v8, vcc_lo
	s_delay_alu instid0(VALU_DEP_2) | instskip(NEXT) | instid1(VALU_DEP_2)
	v_add_co_u32 v7, vcc_lo, v7, v11
	v_add_co_ci_u32_e32 v7, vcc_lo, v8, v12, vcc_lo
	v_add_co_ci_u32_e32 v8, vcc_lo, 0, v14, vcc_lo
	s_delay_alu instid0(VALU_DEP_2) | instskip(NEXT) | instid1(VALU_DEP_2)
	v_add_co_u32 v11, vcc_lo, v7, v13
	v_add_co_ci_u32_e32 v12, vcc_lo, 0, v8, vcc_lo
	s_delay_alu instid0(VALU_DEP_2) | instskip(SKIP_1) | instid1(VALU_DEP_3)
	v_mul_lo_u32 v13, s39, v11
	v_mad_u64_u32 v[7:8], null, s38, v11, 0
	v_mul_lo_u32 v14, s38, v12
	s_delay_alu instid0(VALU_DEP_2) | instskip(NEXT) | instid1(VALU_DEP_2)
	v_sub_co_u32 v7, vcc_lo, v9, v7
	v_add3_u32 v8, v8, v14, v13
	s_delay_alu instid0(VALU_DEP_1) | instskip(NEXT) | instid1(VALU_DEP_1)
	v_sub_nc_u32_e32 v13, v10, v8
	v_subrev_co_ci_u32_e64 v9, s2, s39, v13, vcc_lo
	v_add_co_u32 v13, s2, v11, 2
	s_delay_alu instid0(VALU_DEP_1) | instskip(SKIP_3) | instid1(VALU_DEP_3)
	v_add_co_ci_u32_e64 v14, s2, 0, v12, s2
	v_sub_co_u32 v15, s2, v7, s38
	v_sub_co_ci_u32_e32 v8, vcc_lo, v10, v8, vcc_lo
	v_subrev_co_ci_u32_e64 v9, s2, 0, v9, s2
	v_cmp_le_u32_e32 vcc_lo, s38, v15
	s_delay_alu instid0(VALU_DEP_3) | instskip(SKIP_1) | instid1(VALU_DEP_4)
	v_cmp_eq_u32_e64 s2, s39, v8
	v_cndmask_b32_e64 v10, 0, -1, vcc_lo
	v_cmp_le_u32_e32 vcc_lo, s39, v9
	v_cndmask_b32_e64 v15, 0, -1, vcc_lo
	v_cmp_le_u32_e32 vcc_lo, s38, v7
	;; [unrolled: 2-line block ×3, first 2 shown]
	v_cndmask_b32_e64 v16, 0, -1, vcc_lo
	v_cmp_eq_u32_e32 vcc_lo, s39, v9
	s_delay_alu instid0(VALU_DEP_2) | instskip(SKIP_3) | instid1(VALU_DEP_3)
	v_cndmask_b32_e64 v7, v16, v7, s2
	v_cndmask_b32_e32 v9, v15, v10, vcc_lo
	v_add_co_u32 v10, vcc_lo, v11, 1
	v_add_co_ci_u32_e32 v15, vcc_lo, 0, v12, vcc_lo
	v_cmp_ne_u32_e32 vcc_lo, 0, v9
	s_delay_alu instid0(VALU_DEP_2) | instskip(SKIP_1) | instid1(VALU_DEP_2)
	v_dual_cndmask_b32 v8, v15, v14 :: v_dual_cndmask_b32 v9, v10, v13
	v_cmp_ne_u32_e32 vcc_lo, 0, v7
	v_dual_cndmask_b32 v8, v12, v8 :: v_dual_cndmask_b32 v7, v11, v9
                                        ; implicit-def: $vgpr9
.LBB10_173:
	s_and_not1_saveexec_b32 s2, s3
	s_cbranch_execz .LBB10_175
; %bb.174:
	v_cvt_f32_u32_e32 v7, s38
	s_sub_i32 s3, 0, s38
	s_delay_alu instid0(VALU_DEP_1) | instskip(SKIP_2) | instid1(VALU_DEP_1)
	v_rcp_iflag_f32_e32 v7, v7
	s_waitcnt_depctr 0xfff
	v_mul_f32_e32 v7, 0x4f7ffffe, v7
	v_cvt_u32_f32_e32 v7, v7
	s_delay_alu instid0(VALU_DEP_1) | instskip(NEXT) | instid1(VALU_DEP_1)
	v_mul_lo_u32 v8, s3, v7
	v_mul_hi_u32 v8, v7, v8
	s_delay_alu instid0(VALU_DEP_1) | instskip(NEXT) | instid1(VALU_DEP_1)
	v_add_nc_u32_e32 v7, v7, v8
	v_mul_hi_u32 v7, v9, v7
	s_delay_alu instid0(VALU_DEP_1) | instskip(NEXT) | instid1(VALU_DEP_1)
	v_mul_lo_u32 v8, v7, s38
	v_sub_nc_u32_e32 v8, v9, v8
	v_add_nc_u32_e32 v9, 1, v7
	s_delay_alu instid0(VALU_DEP_2) | instskip(SKIP_1) | instid1(VALU_DEP_2)
	v_subrev_nc_u32_e32 v10, s38, v8
	v_cmp_le_u32_e32 vcc_lo, s38, v8
	v_dual_cndmask_b32 v8, v8, v10 :: v_dual_cndmask_b32 v7, v7, v9
	s_delay_alu instid0(VALU_DEP_1) | instskip(NEXT) | instid1(VALU_DEP_2)
	v_cmp_le_u32_e32 vcc_lo, s38, v8
	v_dual_mov_b32 v8, 0 :: v_dual_add_nc_u32 v9, 1, v7
	s_delay_alu instid0(VALU_DEP_1)
	v_cndmask_b32_e32 v7, v7, v9, vcc_lo
.LBB10_175:
	s_or_b32 exec_lo, exec_lo, s2
	v_add_co_u32 v11, vcc_lo, 0x400, v31
	v_add_co_ci_u32_e32 v12, vcc_lo, 0, v32, vcc_lo
	v_mov_b32_e32 v9, 0
	s_delay_alu instid0(VALU_DEP_2) | instskip(NEXT) | instid1(VALU_DEP_1)
	v_or_b32_e32 v10, s39, v12
	v_cmp_ne_u64_e32 vcc_lo, 0, v[9:10]
                                        ; implicit-def: $vgpr9_vgpr10
	s_and_saveexec_b32 s2, vcc_lo
	s_delay_alu instid0(SALU_CYCLE_1)
	s_xor_b32 s3, exec_lo, s2
	s_cbranch_execz .LBB10_177
; %bb.176:
	v_cvt_f32_u32_e32 v9, s38
	v_cvt_f32_u32_e32 v10, s39
	s_sub_u32 s2, 0, s38
	s_subb_u32 s4, 0, s39
	s_delay_alu instid0(VALU_DEP_1) | instskip(NEXT) | instid1(VALU_DEP_1)
	v_fmamk_f32 v9, v10, 0x4f800000, v9
	v_rcp_f32_e32 v9, v9
	s_waitcnt_depctr 0xfff
	v_mul_f32_e32 v9, 0x5f7ffffc, v9
	s_delay_alu instid0(VALU_DEP_1) | instskip(NEXT) | instid1(VALU_DEP_1)
	v_mul_f32_e32 v10, 0x2f800000, v9
	v_trunc_f32_e32 v10, v10
	s_delay_alu instid0(VALU_DEP_1) | instskip(SKIP_1) | instid1(VALU_DEP_2)
	v_fmamk_f32 v9, v10, 0xcf800000, v9
	v_cvt_u32_f32_e32 v10, v10
	v_cvt_u32_f32_e32 v9, v9
	s_delay_alu instid0(VALU_DEP_2) | instskip(NEXT) | instid1(VALU_DEP_2)
	v_mul_lo_u32 v13, s2, v10
	v_mul_hi_u32 v14, s2, v9
	v_mul_lo_u32 v15, s4, v9
	s_delay_alu instid0(VALU_DEP_2) | instskip(SKIP_1) | instid1(VALU_DEP_2)
	v_add_nc_u32_e32 v13, v14, v13
	v_mul_lo_u32 v14, s2, v9
	v_add_nc_u32_e32 v13, v13, v15
	s_delay_alu instid0(VALU_DEP_2) | instskip(NEXT) | instid1(VALU_DEP_2)
	v_mul_hi_u32 v15, v9, v14
	v_mul_lo_u32 v16, v9, v13
	v_mul_hi_u32 v17, v9, v13
	v_mul_hi_u32 v18, v10, v14
	v_mul_lo_u32 v14, v10, v14
	v_mul_hi_u32 v19, v10, v13
	v_mul_lo_u32 v13, v10, v13
	v_add_co_u32 v15, vcc_lo, v15, v16
	v_add_co_ci_u32_e32 v16, vcc_lo, 0, v17, vcc_lo
	s_delay_alu instid0(VALU_DEP_2) | instskip(NEXT) | instid1(VALU_DEP_2)
	v_add_co_u32 v14, vcc_lo, v15, v14
	v_add_co_ci_u32_e32 v14, vcc_lo, v16, v18, vcc_lo
	v_add_co_ci_u32_e32 v15, vcc_lo, 0, v19, vcc_lo
	s_delay_alu instid0(VALU_DEP_2) | instskip(NEXT) | instid1(VALU_DEP_2)
	v_add_co_u32 v13, vcc_lo, v14, v13
	v_add_co_ci_u32_e32 v14, vcc_lo, 0, v15, vcc_lo
	s_delay_alu instid0(VALU_DEP_2) | instskip(NEXT) | instid1(VALU_DEP_2)
	v_add_co_u32 v9, vcc_lo, v9, v13
	v_add_co_ci_u32_e32 v10, vcc_lo, v10, v14, vcc_lo
	s_delay_alu instid0(VALU_DEP_2) | instskip(SKIP_1) | instid1(VALU_DEP_3)
	v_mul_hi_u32 v13, s2, v9
	v_mul_lo_u32 v15, s4, v9
	v_mul_lo_u32 v14, s2, v10
	s_delay_alu instid0(VALU_DEP_1) | instskip(SKIP_1) | instid1(VALU_DEP_2)
	v_add_nc_u32_e32 v13, v13, v14
	v_mul_lo_u32 v14, s2, v9
	v_add_nc_u32_e32 v13, v13, v15
	s_delay_alu instid0(VALU_DEP_2) | instskip(NEXT) | instid1(VALU_DEP_2)
	v_mul_hi_u32 v15, v9, v14
	v_mul_lo_u32 v16, v9, v13
	v_mul_hi_u32 v17, v9, v13
	v_mul_hi_u32 v18, v10, v14
	v_mul_lo_u32 v14, v10, v14
	v_mul_hi_u32 v19, v10, v13
	v_mul_lo_u32 v13, v10, v13
	v_add_co_u32 v15, vcc_lo, v15, v16
	v_add_co_ci_u32_e32 v16, vcc_lo, 0, v17, vcc_lo
	s_delay_alu instid0(VALU_DEP_2) | instskip(NEXT) | instid1(VALU_DEP_2)
	v_add_co_u32 v14, vcc_lo, v15, v14
	v_add_co_ci_u32_e32 v14, vcc_lo, v16, v18, vcc_lo
	v_add_co_ci_u32_e32 v15, vcc_lo, 0, v19, vcc_lo
	s_delay_alu instid0(VALU_DEP_2) | instskip(NEXT) | instid1(VALU_DEP_2)
	v_add_co_u32 v13, vcc_lo, v14, v13
	v_add_co_ci_u32_e32 v14, vcc_lo, 0, v15, vcc_lo
	s_delay_alu instid0(VALU_DEP_2) | instskip(NEXT) | instid1(VALU_DEP_2)
	v_add_co_u32 v15, vcc_lo, v9, v13
	v_add_co_ci_u32_e32 v17, vcc_lo, v10, v14, vcc_lo
	s_delay_alu instid0(VALU_DEP_2) | instskip(SKIP_1) | instid1(VALU_DEP_3)
	v_mul_hi_u32 v18, v11, v15
	v_mad_u64_u32 v[13:14], null, v12, v15, 0
	v_mad_u64_u32 v[9:10], null, v11, v17, 0
	;; [unrolled: 1-line block ×3, first 2 shown]
	s_delay_alu instid0(VALU_DEP_2) | instskip(NEXT) | instid1(VALU_DEP_3)
	v_add_co_u32 v9, vcc_lo, v18, v9
	v_add_co_ci_u32_e32 v10, vcc_lo, 0, v10, vcc_lo
	s_delay_alu instid0(VALU_DEP_2) | instskip(NEXT) | instid1(VALU_DEP_2)
	v_add_co_u32 v9, vcc_lo, v9, v13
	v_add_co_ci_u32_e32 v9, vcc_lo, v10, v14, vcc_lo
	v_add_co_ci_u32_e32 v10, vcc_lo, 0, v16, vcc_lo
	s_delay_alu instid0(VALU_DEP_2) | instskip(NEXT) | instid1(VALU_DEP_2)
	v_add_co_u32 v13, vcc_lo, v9, v15
	v_add_co_ci_u32_e32 v14, vcc_lo, 0, v10, vcc_lo
	s_delay_alu instid0(VALU_DEP_2) | instskip(SKIP_1) | instid1(VALU_DEP_3)
	v_mul_lo_u32 v15, s39, v13
	v_mad_u64_u32 v[9:10], null, s38, v13, 0
	v_mul_lo_u32 v16, s38, v14
	s_delay_alu instid0(VALU_DEP_2) | instskip(NEXT) | instid1(VALU_DEP_2)
	v_sub_co_u32 v9, vcc_lo, v11, v9
	v_add3_u32 v10, v10, v16, v15
	s_delay_alu instid0(VALU_DEP_1) | instskip(NEXT) | instid1(VALU_DEP_1)
	v_sub_nc_u32_e32 v15, v12, v10
	v_subrev_co_ci_u32_e64 v11, s2, s39, v15, vcc_lo
	v_add_co_u32 v15, s2, v13, 2
	s_delay_alu instid0(VALU_DEP_1) | instskip(SKIP_3) | instid1(VALU_DEP_3)
	v_add_co_ci_u32_e64 v16, s2, 0, v14, s2
	v_sub_co_u32 v17, s2, v9, s38
	v_sub_co_ci_u32_e32 v10, vcc_lo, v12, v10, vcc_lo
	v_subrev_co_ci_u32_e64 v11, s2, 0, v11, s2
	v_cmp_le_u32_e32 vcc_lo, s38, v17
	s_delay_alu instid0(VALU_DEP_3) | instskip(SKIP_1) | instid1(VALU_DEP_4)
	v_cmp_eq_u32_e64 s2, s39, v10
	v_cndmask_b32_e64 v12, 0, -1, vcc_lo
	v_cmp_le_u32_e32 vcc_lo, s39, v11
	v_cndmask_b32_e64 v17, 0, -1, vcc_lo
	v_cmp_le_u32_e32 vcc_lo, s38, v9
	;; [unrolled: 2-line block ×3, first 2 shown]
	v_cndmask_b32_e64 v18, 0, -1, vcc_lo
	v_cmp_eq_u32_e32 vcc_lo, s39, v11
	s_delay_alu instid0(VALU_DEP_2) | instskip(SKIP_3) | instid1(VALU_DEP_3)
	v_cndmask_b32_e64 v9, v18, v9, s2
	v_cndmask_b32_e32 v11, v17, v12, vcc_lo
	v_add_co_u32 v12, vcc_lo, v13, 1
	v_add_co_ci_u32_e32 v17, vcc_lo, 0, v14, vcc_lo
	v_cmp_ne_u32_e32 vcc_lo, 0, v11
	s_delay_alu instid0(VALU_DEP_2) | instskip(SKIP_1) | instid1(VALU_DEP_2)
	v_dual_cndmask_b32 v10, v17, v16 :: v_dual_cndmask_b32 v11, v12, v15
	v_cmp_ne_u32_e32 vcc_lo, 0, v9
	v_dual_cndmask_b32 v10, v14, v10 :: v_dual_cndmask_b32 v9, v13, v11
                                        ; implicit-def: $vgpr11
.LBB10_177:
	s_and_not1_saveexec_b32 s2, s3
	s_cbranch_execz .LBB10_179
; %bb.178:
	v_cvt_f32_u32_e32 v9, s38
	s_sub_i32 s3, 0, s38
	s_delay_alu instid0(VALU_DEP_1) | instskip(SKIP_2) | instid1(VALU_DEP_1)
	v_rcp_iflag_f32_e32 v9, v9
	s_waitcnt_depctr 0xfff
	v_mul_f32_e32 v9, 0x4f7ffffe, v9
	v_cvt_u32_f32_e32 v9, v9
	s_delay_alu instid0(VALU_DEP_1) | instskip(NEXT) | instid1(VALU_DEP_1)
	v_mul_lo_u32 v10, s3, v9
	v_mul_hi_u32 v10, v9, v10
	s_delay_alu instid0(VALU_DEP_1) | instskip(NEXT) | instid1(VALU_DEP_1)
	v_add_nc_u32_e32 v9, v9, v10
	v_mul_hi_u32 v9, v11, v9
	s_delay_alu instid0(VALU_DEP_1) | instskip(NEXT) | instid1(VALU_DEP_1)
	v_mul_lo_u32 v10, v9, s38
	v_sub_nc_u32_e32 v10, v11, v10
	v_add_nc_u32_e32 v11, 1, v9
	s_delay_alu instid0(VALU_DEP_2) | instskip(SKIP_1) | instid1(VALU_DEP_2)
	v_subrev_nc_u32_e32 v12, s38, v10
	v_cmp_le_u32_e32 vcc_lo, s38, v10
	v_dual_cndmask_b32 v10, v10, v12 :: v_dual_cndmask_b32 v9, v9, v11
	s_delay_alu instid0(VALU_DEP_1) | instskip(NEXT) | instid1(VALU_DEP_2)
	v_cmp_le_u32_e32 vcc_lo, s38, v10
	v_dual_mov_b32 v10, 0 :: v_dual_add_nc_u32 v11, 1, v9
	s_delay_alu instid0(VALU_DEP_1)
	v_cndmask_b32_e32 v9, v9, v11, vcc_lo
.LBB10_179:
	s_or_b32 exec_lo, exec_lo, s2
	v_add_co_u32 v13, vcc_lo, 0x500, v31
	v_add_co_ci_u32_e32 v14, vcc_lo, 0, v32, vcc_lo
	v_mov_b32_e32 v11, 0
	s_delay_alu instid0(VALU_DEP_2) | instskip(NEXT) | instid1(VALU_DEP_1)
	v_or_b32_e32 v12, s39, v14
	v_cmp_ne_u64_e32 vcc_lo, 0, v[11:12]
                                        ; implicit-def: $vgpr11_vgpr12
	s_and_saveexec_b32 s2, vcc_lo
	s_delay_alu instid0(SALU_CYCLE_1)
	s_xor_b32 s3, exec_lo, s2
	s_cbranch_execz .LBB10_181
; %bb.180:
	v_cvt_f32_u32_e32 v11, s38
	v_cvt_f32_u32_e32 v12, s39
	s_sub_u32 s2, 0, s38
	s_subb_u32 s4, 0, s39
	s_delay_alu instid0(VALU_DEP_1) | instskip(NEXT) | instid1(VALU_DEP_1)
	v_fmamk_f32 v11, v12, 0x4f800000, v11
	v_rcp_f32_e32 v11, v11
	s_waitcnt_depctr 0xfff
	v_mul_f32_e32 v11, 0x5f7ffffc, v11
	s_delay_alu instid0(VALU_DEP_1) | instskip(NEXT) | instid1(VALU_DEP_1)
	v_mul_f32_e32 v12, 0x2f800000, v11
	v_trunc_f32_e32 v12, v12
	s_delay_alu instid0(VALU_DEP_1) | instskip(SKIP_1) | instid1(VALU_DEP_2)
	v_fmamk_f32 v11, v12, 0xcf800000, v11
	v_cvt_u32_f32_e32 v12, v12
	v_cvt_u32_f32_e32 v11, v11
	s_delay_alu instid0(VALU_DEP_2) | instskip(NEXT) | instid1(VALU_DEP_2)
	v_mul_lo_u32 v15, s2, v12
	v_mul_hi_u32 v16, s2, v11
	v_mul_lo_u32 v17, s4, v11
	s_delay_alu instid0(VALU_DEP_2) | instskip(SKIP_1) | instid1(VALU_DEP_2)
	v_add_nc_u32_e32 v15, v16, v15
	v_mul_lo_u32 v16, s2, v11
	v_add_nc_u32_e32 v15, v15, v17
	s_delay_alu instid0(VALU_DEP_2) | instskip(NEXT) | instid1(VALU_DEP_2)
	v_mul_hi_u32 v17, v11, v16
	v_mul_lo_u32 v18, v11, v15
	v_mul_hi_u32 v19, v11, v15
	v_mul_hi_u32 v20, v12, v16
	v_mul_lo_u32 v16, v12, v16
	v_mul_hi_u32 v21, v12, v15
	v_mul_lo_u32 v15, v12, v15
	v_add_co_u32 v17, vcc_lo, v17, v18
	v_add_co_ci_u32_e32 v18, vcc_lo, 0, v19, vcc_lo
	s_delay_alu instid0(VALU_DEP_2) | instskip(NEXT) | instid1(VALU_DEP_2)
	v_add_co_u32 v16, vcc_lo, v17, v16
	v_add_co_ci_u32_e32 v16, vcc_lo, v18, v20, vcc_lo
	v_add_co_ci_u32_e32 v17, vcc_lo, 0, v21, vcc_lo
	s_delay_alu instid0(VALU_DEP_2) | instskip(NEXT) | instid1(VALU_DEP_2)
	v_add_co_u32 v15, vcc_lo, v16, v15
	v_add_co_ci_u32_e32 v16, vcc_lo, 0, v17, vcc_lo
	s_delay_alu instid0(VALU_DEP_2) | instskip(NEXT) | instid1(VALU_DEP_2)
	v_add_co_u32 v11, vcc_lo, v11, v15
	v_add_co_ci_u32_e32 v12, vcc_lo, v12, v16, vcc_lo
	s_delay_alu instid0(VALU_DEP_2) | instskip(SKIP_1) | instid1(VALU_DEP_3)
	v_mul_hi_u32 v15, s2, v11
	v_mul_lo_u32 v17, s4, v11
	v_mul_lo_u32 v16, s2, v12
	s_delay_alu instid0(VALU_DEP_1) | instskip(SKIP_1) | instid1(VALU_DEP_2)
	v_add_nc_u32_e32 v15, v15, v16
	v_mul_lo_u32 v16, s2, v11
	v_add_nc_u32_e32 v15, v15, v17
	s_delay_alu instid0(VALU_DEP_2) | instskip(NEXT) | instid1(VALU_DEP_2)
	v_mul_hi_u32 v17, v11, v16
	v_mul_lo_u32 v18, v11, v15
	v_mul_hi_u32 v19, v11, v15
	v_mul_hi_u32 v20, v12, v16
	v_mul_lo_u32 v16, v12, v16
	v_mul_hi_u32 v21, v12, v15
	v_mul_lo_u32 v15, v12, v15
	v_add_co_u32 v17, vcc_lo, v17, v18
	v_add_co_ci_u32_e32 v18, vcc_lo, 0, v19, vcc_lo
	s_delay_alu instid0(VALU_DEP_2) | instskip(NEXT) | instid1(VALU_DEP_2)
	v_add_co_u32 v16, vcc_lo, v17, v16
	v_add_co_ci_u32_e32 v16, vcc_lo, v18, v20, vcc_lo
	v_add_co_ci_u32_e32 v17, vcc_lo, 0, v21, vcc_lo
	s_delay_alu instid0(VALU_DEP_2) | instskip(NEXT) | instid1(VALU_DEP_2)
	v_add_co_u32 v15, vcc_lo, v16, v15
	v_add_co_ci_u32_e32 v16, vcc_lo, 0, v17, vcc_lo
	s_delay_alu instid0(VALU_DEP_2) | instskip(NEXT) | instid1(VALU_DEP_2)
	v_add_co_u32 v17, vcc_lo, v11, v15
	v_add_co_ci_u32_e32 v19, vcc_lo, v12, v16, vcc_lo
	s_delay_alu instid0(VALU_DEP_2) | instskip(SKIP_1) | instid1(VALU_DEP_3)
	v_mul_hi_u32 v20, v13, v17
	v_mad_u64_u32 v[15:16], null, v14, v17, 0
	v_mad_u64_u32 v[11:12], null, v13, v19, 0
	;; [unrolled: 1-line block ×3, first 2 shown]
	s_delay_alu instid0(VALU_DEP_2) | instskip(NEXT) | instid1(VALU_DEP_3)
	v_add_co_u32 v11, vcc_lo, v20, v11
	v_add_co_ci_u32_e32 v12, vcc_lo, 0, v12, vcc_lo
	s_delay_alu instid0(VALU_DEP_2) | instskip(NEXT) | instid1(VALU_DEP_2)
	v_add_co_u32 v11, vcc_lo, v11, v15
	v_add_co_ci_u32_e32 v11, vcc_lo, v12, v16, vcc_lo
	v_add_co_ci_u32_e32 v12, vcc_lo, 0, v18, vcc_lo
	s_delay_alu instid0(VALU_DEP_2) | instskip(NEXT) | instid1(VALU_DEP_2)
	v_add_co_u32 v15, vcc_lo, v11, v17
	v_add_co_ci_u32_e32 v16, vcc_lo, 0, v12, vcc_lo
	s_delay_alu instid0(VALU_DEP_2) | instskip(SKIP_1) | instid1(VALU_DEP_3)
	v_mul_lo_u32 v17, s39, v15
	v_mad_u64_u32 v[11:12], null, s38, v15, 0
	v_mul_lo_u32 v18, s38, v16
	s_delay_alu instid0(VALU_DEP_2) | instskip(NEXT) | instid1(VALU_DEP_2)
	v_sub_co_u32 v11, vcc_lo, v13, v11
	v_add3_u32 v12, v12, v18, v17
	s_delay_alu instid0(VALU_DEP_1) | instskip(NEXT) | instid1(VALU_DEP_1)
	v_sub_nc_u32_e32 v17, v14, v12
	v_subrev_co_ci_u32_e64 v13, s2, s39, v17, vcc_lo
	v_add_co_u32 v17, s2, v15, 2
	s_delay_alu instid0(VALU_DEP_1) | instskip(SKIP_3) | instid1(VALU_DEP_3)
	v_add_co_ci_u32_e64 v18, s2, 0, v16, s2
	v_sub_co_u32 v19, s2, v11, s38
	v_sub_co_ci_u32_e32 v12, vcc_lo, v14, v12, vcc_lo
	v_subrev_co_ci_u32_e64 v13, s2, 0, v13, s2
	v_cmp_le_u32_e32 vcc_lo, s38, v19
	s_delay_alu instid0(VALU_DEP_3) | instskip(SKIP_1) | instid1(VALU_DEP_4)
	v_cmp_eq_u32_e64 s2, s39, v12
	v_cndmask_b32_e64 v14, 0, -1, vcc_lo
	v_cmp_le_u32_e32 vcc_lo, s39, v13
	v_cndmask_b32_e64 v19, 0, -1, vcc_lo
	v_cmp_le_u32_e32 vcc_lo, s38, v11
	;; [unrolled: 2-line block ×3, first 2 shown]
	v_cndmask_b32_e64 v20, 0, -1, vcc_lo
	v_cmp_eq_u32_e32 vcc_lo, s39, v13
	s_delay_alu instid0(VALU_DEP_2) | instskip(SKIP_3) | instid1(VALU_DEP_3)
	v_cndmask_b32_e64 v11, v20, v11, s2
	v_cndmask_b32_e32 v13, v19, v14, vcc_lo
	v_add_co_u32 v14, vcc_lo, v15, 1
	v_add_co_ci_u32_e32 v19, vcc_lo, 0, v16, vcc_lo
	v_cmp_ne_u32_e32 vcc_lo, 0, v13
	s_delay_alu instid0(VALU_DEP_2) | instskip(SKIP_1) | instid1(VALU_DEP_2)
	v_dual_cndmask_b32 v12, v19, v18 :: v_dual_cndmask_b32 v13, v14, v17
	v_cmp_ne_u32_e32 vcc_lo, 0, v11
	v_dual_cndmask_b32 v12, v16, v12 :: v_dual_cndmask_b32 v11, v15, v13
                                        ; implicit-def: $vgpr13
.LBB10_181:
	s_and_not1_saveexec_b32 s2, s3
	s_cbranch_execz .LBB10_183
; %bb.182:
	v_cvt_f32_u32_e32 v11, s38
	s_sub_i32 s3, 0, s38
	s_delay_alu instid0(VALU_DEP_1) | instskip(SKIP_2) | instid1(VALU_DEP_1)
	v_rcp_iflag_f32_e32 v11, v11
	s_waitcnt_depctr 0xfff
	v_mul_f32_e32 v11, 0x4f7ffffe, v11
	v_cvt_u32_f32_e32 v11, v11
	s_delay_alu instid0(VALU_DEP_1) | instskip(NEXT) | instid1(VALU_DEP_1)
	v_mul_lo_u32 v12, s3, v11
	v_mul_hi_u32 v12, v11, v12
	s_delay_alu instid0(VALU_DEP_1) | instskip(NEXT) | instid1(VALU_DEP_1)
	v_add_nc_u32_e32 v11, v11, v12
	v_mul_hi_u32 v11, v13, v11
	s_delay_alu instid0(VALU_DEP_1) | instskip(NEXT) | instid1(VALU_DEP_1)
	v_mul_lo_u32 v12, v11, s38
	v_sub_nc_u32_e32 v12, v13, v12
	v_add_nc_u32_e32 v13, 1, v11
	s_delay_alu instid0(VALU_DEP_2) | instskip(SKIP_1) | instid1(VALU_DEP_2)
	v_subrev_nc_u32_e32 v14, s38, v12
	v_cmp_le_u32_e32 vcc_lo, s38, v12
	v_dual_cndmask_b32 v12, v12, v14 :: v_dual_cndmask_b32 v11, v11, v13
	s_delay_alu instid0(VALU_DEP_1) | instskip(NEXT) | instid1(VALU_DEP_2)
	v_cmp_le_u32_e32 vcc_lo, s38, v12
	v_dual_mov_b32 v12, 0 :: v_dual_add_nc_u32 v13, 1, v11
	s_delay_alu instid0(VALU_DEP_1)
	v_cndmask_b32_e32 v11, v11, v13, vcc_lo
.LBB10_183:
	s_or_b32 exec_lo, exec_lo, s2
	v_add_co_u32 v15, vcc_lo, 0x600, v31
	v_add_co_ci_u32_e32 v16, vcc_lo, 0, v32, vcc_lo
	v_mov_b32_e32 v13, 0
	s_delay_alu instid0(VALU_DEP_2) | instskip(NEXT) | instid1(VALU_DEP_1)
	v_or_b32_e32 v14, s39, v16
	v_cmp_ne_u64_e32 vcc_lo, 0, v[13:14]
                                        ; implicit-def: $vgpr13_vgpr14
	s_and_saveexec_b32 s2, vcc_lo
	s_delay_alu instid0(SALU_CYCLE_1)
	s_xor_b32 s3, exec_lo, s2
	s_cbranch_execz .LBB10_185
; %bb.184:
	v_cvt_f32_u32_e32 v13, s38
	v_cvt_f32_u32_e32 v14, s39
	s_sub_u32 s2, 0, s38
	s_subb_u32 s4, 0, s39
	s_delay_alu instid0(VALU_DEP_1) | instskip(NEXT) | instid1(VALU_DEP_1)
	v_fmamk_f32 v13, v14, 0x4f800000, v13
	v_rcp_f32_e32 v13, v13
	s_waitcnt_depctr 0xfff
	v_mul_f32_e32 v13, 0x5f7ffffc, v13
	s_delay_alu instid0(VALU_DEP_1) | instskip(NEXT) | instid1(VALU_DEP_1)
	v_mul_f32_e32 v14, 0x2f800000, v13
	v_trunc_f32_e32 v14, v14
	s_delay_alu instid0(VALU_DEP_1) | instskip(SKIP_1) | instid1(VALU_DEP_2)
	v_fmamk_f32 v13, v14, 0xcf800000, v13
	v_cvt_u32_f32_e32 v14, v14
	v_cvt_u32_f32_e32 v13, v13
	s_delay_alu instid0(VALU_DEP_2) | instskip(NEXT) | instid1(VALU_DEP_2)
	v_mul_lo_u32 v17, s2, v14
	v_mul_hi_u32 v18, s2, v13
	v_mul_lo_u32 v19, s4, v13
	s_delay_alu instid0(VALU_DEP_2) | instskip(SKIP_1) | instid1(VALU_DEP_2)
	v_add_nc_u32_e32 v17, v18, v17
	v_mul_lo_u32 v18, s2, v13
	v_add_nc_u32_e32 v17, v17, v19
	s_delay_alu instid0(VALU_DEP_2) | instskip(NEXT) | instid1(VALU_DEP_2)
	v_mul_hi_u32 v19, v13, v18
	v_mul_lo_u32 v20, v13, v17
	v_mul_hi_u32 v21, v13, v17
	v_mul_hi_u32 v22, v14, v18
	v_mul_lo_u32 v18, v14, v18
	v_mul_hi_u32 v23, v14, v17
	v_mul_lo_u32 v17, v14, v17
	v_add_co_u32 v19, vcc_lo, v19, v20
	v_add_co_ci_u32_e32 v20, vcc_lo, 0, v21, vcc_lo
	s_delay_alu instid0(VALU_DEP_2) | instskip(NEXT) | instid1(VALU_DEP_2)
	v_add_co_u32 v18, vcc_lo, v19, v18
	v_add_co_ci_u32_e32 v18, vcc_lo, v20, v22, vcc_lo
	v_add_co_ci_u32_e32 v19, vcc_lo, 0, v23, vcc_lo
	s_delay_alu instid0(VALU_DEP_2) | instskip(NEXT) | instid1(VALU_DEP_2)
	v_add_co_u32 v17, vcc_lo, v18, v17
	v_add_co_ci_u32_e32 v18, vcc_lo, 0, v19, vcc_lo
	s_delay_alu instid0(VALU_DEP_2) | instskip(NEXT) | instid1(VALU_DEP_2)
	v_add_co_u32 v13, vcc_lo, v13, v17
	v_add_co_ci_u32_e32 v14, vcc_lo, v14, v18, vcc_lo
	s_delay_alu instid0(VALU_DEP_2) | instskip(SKIP_1) | instid1(VALU_DEP_3)
	v_mul_hi_u32 v17, s2, v13
	v_mul_lo_u32 v19, s4, v13
	v_mul_lo_u32 v18, s2, v14
	s_delay_alu instid0(VALU_DEP_1) | instskip(SKIP_1) | instid1(VALU_DEP_2)
	v_add_nc_u32_e32 v17, v17, v18
	v_mul_lo_u32 v18, s2, v13
	v_add_nc_u32_e32 v17, v17, v19
	s_delay_alu instid0(VALU_DEP_2) | instskip(NEXT) | instid1(VALU_DEP_2)
	v_mul_hi_u32 v19, v13, v18
	v_mul_lo_u32 v20, v13, v17
	v_mul_hi_u32 v21, v13, v17
	v_mul_hi_u32 v22, v14, v18
	v_mul_lo_u32 v18, v14, v18
	v_mul_hi_u32 v23, v14, v17
	v_mul_lo_u32 v17, v14, v17
	v_add_co_u32 v19, vcc_lo, v19, v20
	v_add_co_ci_u32_e32 v20, vcc_lo, 0, v21, vcc_lo
	s_delay_alu instid0(VALU_DEP_2) | instskip(NEXT) | instid1(VALU_DEP_2)
	v_add_co_u32 v18, vcc_lo, v19, v18
	v_add_co_ci_u32_e32 v18, vcc_lo, v20, v22, vcc_lo
	v_add_co_ci_u32_e32 v19, vcc_lo, 0, v23, vcc_lo
	s_delay_alu instid0(VALU_DEP_2) | instskip(NEXT) | instid1(VALU_DEP_2)
	v_add_co_u32 v17, vcc_lo, v18, v17
	v_add_co_ci_u32_e32 v18, vcc_lo, 0, v19, vcc_lo
	s_delay_alu instid0(VALU_DEP_2) | instskip(NEXT) | instid1(VALU_DEP_2)
	v_add_co_u32 v19, vcc_lo, v13, v17
	v_add_co_ci_u32_e32 v21, vcc_lo, v14, v18, vcc_lo
	s_delay_alu instid0(VALU_DEP_2) | instskip(SKIP_1) | instid1(VALU_DEP_3)
	v_mul_hi_u32 v22, v15, v19
	v_mad_u64_u32 v[17:18], null, v16, v19, 0
	v_mad_u64_u32 v[13:14], null, v15, v21, 0
	;; [unrolled: 1-line block ×3, first 2 shown]
	s_delay_alu instid0(VALU_DEP_2) | instskip(NEXT) | instid1(VALU_DEP_3)
	v_add_co_u32 v13, vcc_lo, v22, v13
	v_add_co_ci_u32_e32 v14, vcc_lo, 0, v14, vcc_lo
	s_delay_alu instid0(VALU_DEP_2) | instskip(NEXT) | instid1(VALU_DEP_2)
	v_add_co_u32 v13, vcc_lo, v13, v17
	v_add_co_ci_u32_e32 v13, vcc_lo, v14, v18, vcc_lo
	v_add_co_ci_u32_e32 v14, vcc_lo, 0, v20, vcc_lo
	s_delay_alu instid0(VALU_DEP_2) | instskip(NEXT) | instid1(VALU_DEP_2)
	v_add_co_u32 v17, vcc_lo, v13, v19
	v_add_co_ci_u32_e32 v18, vcc_lo, 0, v14, vcc_lo
	s_delay_alu instid0(VALU_DEP_2) | instskip(SKIP_1) | instid1(VALU_DEP_3)
	v_mul_lo_u32 v19, s39, v17
	v_mad_u64_u32 v[13:14], null, s38, v17, 0
	v_mul_lo_u32 v20, s38, v18
	s_delay_alu instid0(VALU_DEP_2) | instskip(NEXT) | instid1(VALU_DEP_2)
	v_sub_co_u32 v13, vcc_lo, v15, v13
	v_add3_u32 v14, v14, v20, v19
	s_delay_alu instid0(VALU_DEP_1) | instskip(NEXT) | instid1(VALU_DEP_1)
	v_sub_nc_u32_e32 v19, v16, v14
	v_subrev_co_ci_u32_e64 v15, s2, s39, v19, vcc_lo
	v_add_co_u32 v19, s2, v17, 2
	s_delay_alu instid0(VALU_DEP_1) | instskip(SKIP_3) | instid1(VALU_DEP_3)
	v_add_co_ci_u32_e64 v20, s2, 0, v18, s2
	v_sub_co_u32 v21, s2, v13, s38
	v_sub_co_ci_u32_e32 v14, vcc_lo, v16, v14, vcc_lo
	v_subrev_co_ci_u32_e64 v15, s2, 0, v15, s2
	v_cmp_le_u32_e32 vcc_lo, s38, v21
	s_delay_alu instid0(VALU_DEP_3) | instskip(SKIP_1) | instid1(VALU_DEP_4)
	v_cmp_eq_u32_e64 s2, s39, v14
	v_cndmask_b32_e64 v16, 0, -1, vcc_lo
	v_cmp_le_u32_e32 vcc_lo, s39, v15
	v_cndmask_b32_e64 v21, 0, -1, vcc_lo
	v_cmp_le_u32_e32 vcc_lo, s38, v13
	;; [unrolled: 2-line block ×3, first 2 shown]
	v_cndmask_b32_e64 v22, 0, -1, vcc_lo
	v_cmp_eq_u32_e32 vcc_lo, s39, v15
	s_delay_alu instid0(VALU_DEP_2) | instskip(SKIP_3) | instid1(VALU_DEP_3)
	v_cndmask_b32_e64 v13, v22, v13, s2
	v_cndmask_b32_e32 v15, v21, v16, vcc_lo
	v_add_co_u32 v16, vcc_lo, v17, 1
	v_add_co_ci_u32_e32 v21, vcc_lo, 0, v18, vcc_lo
	v_cmp_ne_u32_e32 vcc_lo, 0, v15
	s_delay_alu instid0(VALU_DEP_2) | instskip(SKIP_1) | instid1(VALU_DEP_2)
	v_dual_cndmask_b32 v14, v21, v20 :: v_dual_cndmask_b32 v15, v16, v19
	v_cmp_ne_u32_e32 vcc_lo, 0, v13
	v_dual_cndmask_b32 v14, v18, v14 :: v_dual_cndmask_b32 v13, v17, v15
                                        ; implicit-def: $vgpr15
.LBB10_185:
	s_and_not1_saveexec_b32 s2, s3
	s_cbranch_execz .LBB10_187
; %bb.186:
	v_cvt_f32_u32_e32 v13, s38
	s_sub_i32 s3, 0, s38
	s_delay_alu instid0(VALU_DEP_1) | instskip(SKIP_2) | instid1(VALU_DEP_1)
	v_rcp_iflag_f32_e32 v13, v13
	s_waitcnt_depctr 0xfff
	v_mul_f32_e32 v13, 0x4f7ffffe, v13
	v_cvt_u32_f32_e32 v13, v13
	s_delay_alu instid0(VALU_DEP_1) | instskip(NEXT) | instid1(VALU_DEP_1)
	v_mul_lo_u32 v14, s3, v13
	v_mul_hi_u32 v14, v13, v14
	s_delay_alu instid0(VALU_DEP_1) | instskip(NEXT) | instid1(VALU_DEP_1)
	v_add_nc_u32_e32 v13, v13, v14
	v_mul_hi_u32 v13, v15, v13
	s_delay_alu instid0(VALU_DEP_1) | instskip(NEXT) | instid1(VALU_DEP_1)
	v_mul_lo_u32 v14, v13, s38
	v_sub_nc_u32_e32 v14, v15, v14
	v_add_nc_u32_e32 v15, 1, v13
	s_delay_alu instid0(VALU_DEP_2) | instskip(SKIP_1) | instid1(VALU_DEP_2)
	v_subrev_nc_u32_e32 v16, s38, v14
	v_cmp_le_u32_e32 vcc_lo, s38, v14
	v_dual_cndmask_b32 v14, v14, v16 :: v_dual_cndmask_b32 v13, v13, v15
	s_delay_alu instid0(VALU_DEP_1) | instskip(NEXT) | instid1(VALU_DEP_2)
	v_cmp_le_u32_e32 vcc_lo, s38, v14
	v_dual_mov_b32 v14, 0 :: v_dual_add_nc_u32 v15, 1, v13
	s_delay_alu instid0(VALU_DEP_1)
	v_cndmask_b32_e32 v13, v13, v15, vcc_lo
.LBB10_187:
	s_or_b32 exec_lo, exec_lo, s2
	v_add_co_u32 v17, vcc_lo, 0x700, v31
	v_add_co_ci_u32_e32 v18, vcc_lo, 0, v32, vcc_lo
	v_mov_b32_e32 v15, 0
	s_delay_alu instid0(VALU_DEP_2) | instskip(NEXT) | instid1(VALU_DEP_1)
	v_or_b32_e32 v16, s39, v18
	v_cmp_ne_u64_e32 vcc_lo, 0, v[15:16]
                                        ; implicit-def: $vgpr15_vgpr16
	s_and_saveexec_b32 s2, vcc_lo
	s_delay_alu instid0(SALU_CYCLE_1)
	s_xor_b32 s3, exec_lo, s2
	s_cbranch_execz .LBB10_189
; %bb.188:
	v_cvt_f32_u32_e32 v15, s38
	v_cvt_f32_u32_e32 v16, s39
	s_sub_u32 s2, 0, s38
	s_subb_u32 s4, 0, s39
	s_delay_alu instid0(VALU_DEP_1) | instskip(NEXT) | instid1(VALU_DEP_1)
	v_fmamk_f32 v15, v16, 0x4f800000, v15
	v_rcp_f32_e32 v15, v15
	s_waitcnt_depctr 0xfff
	v_mul_f32_e32 v15, 0x5f7ffffc, v15
	s_delay_alu instid0(VALU_DEP_1) | instskip(NEXT) | instid1(VALU_DEP_1)
	v_mul_f32_e32 v16, 0x2f800000, v15
	v_trunc_f32_e32 v16, v16
	s_delay_alu instid0(VALU_DEP_1) | instskip(SKIP_1) | instid1(VALU_DEP_2)
	v_fmamk_f32 v15, v16, 0xcf800000, v15
	v_cvt_u32_f32_e32 v16, v16
	v_cvt_u32_f32_e32 v15, v15
	s_delay_alu instid0(VALU_DEP_2) | instskip(NEXT) | instid1(VALU_DEP_2)
	v_mul_lo_u32 v19, s2, v16
	v_mul_hi_u32 v20, s2, v15
	v_mul_lo_u32 v21, s4, v15
	s_delay_alu instid0(VALU_DEP_2) | instskip(SKIP_1) | instid1(VALU_DEP_2)
	v_add_nc_u32_e32 v19, v20, v19
	v_mul_lo_u32 v20, s2, v15
	v_add_nc_u32_e32 v19, v19, v21
	s_delay_alu instid0(VALU_DEP_2) | instskip(NEXT) | instid1(VALU_DEP_2)
	v_mul_hi_u32 v21, v15, v20
	v_mul_lo_u32 v22, v15, v19
	v_mul_hi_u32 v23, v15, v19
	v_mul_hi_u32 v24, v16, v20
	v_mul_lo_u32 v20, v16, v20
	v_mul_hi_u32 v25, v16, v19
	v_mul_lo_u32 v19, v16, v19
	v_add_co_u32 v21, vcc_lo, v21, v22
	v_add_co_ci_u32_e32 v22, vcc_lo, 0, v23, vcc_lo
	s_delay_alu instid0(VALU_DEP_2) | instskip(NEXT) | instid1(VALU_DEP_2)
	v_add_co_u32 v20, vcc_lo, v21, v20
	v_add_co_ci_u32_e32 v20, vcc_lo, v22, v24, vcc_lo
	v_add_co_ci_u32_e32 v21, vcc_lo, 0, v25, vcc_lo
	s_delay_alu instid0(VALU_DEP_2) | instskip(NEXT) | instid1(VALU_DEP_2)
	v_add_co_u32 v19, vcc_lo, v20, v19
	v_add_co_ci_u32_e32 v20, vcc_lo, 0, v21, vcc_lo
	s_delay_alu instid0(VALU_DEP_2) | instskip(NEXT) | instid1(VALU_DEP_2)
	v_add_co_u32 v15, vcc_lo, v15, v19
	v_add_co_ci_u32_e32 v16, vcc_lo, v16, v20, vcc_lo
	s_delay_alu instid0(VALU_DEP_2) | instskip(SKIP_1) | instid1(VALU_DEP_3)
	v_mul_hi_u32 v19, s2, v15
	v_mul_lo_u32 v21, s4, v15
	v_mul_lo_u32 v20, s2, v16
	s_delay_alu instid0(VALU_DEP_1) | instskip(SKIP_1) | instid1(VALU_DEP_2)
	v_add_nc_u32_e32 v19, v19, v20
	v_mul_lo_u32 v20, s2, v15
	v_add_nc_u32_e32 v19, v19, v21
	s_delay_alu instid0(VALU_DEP_2) | instskip(NEXT) | instid1(VALU_DEP_2)
	v_mul_hi_u32 v21, v15, v20
	v_mul_lo_u32 v22, v15, v19
	v_mul_hi_u32 v23, v15, v19
	v_mul_hi_u32 v24, v16, v20
	v_mul_lo_u32 v20, v16, v20
	v_mul_hi_u32 v25, v16, v19
	v_mul_lo_u32 v19, v16, v19
	v_add_co_u32 v21, vcc_lo, v21, v22
	v_add_co_ci_u32_e32 v22, vcc_lo, 0, v23, vcc_lo
	s_delay_alu instid0(VALU_DEP_2) | instskip(NEXT) | instid1(VALU_DEP_2)
	v_add_co_u32 v20, vcc_lo, v21, v20
	v_add_co_ci_u32_e32 v20, vcc_lo, v22, v24, vcc_lo
	v_add_co_ci_u32_e32 v21, vcc_lo, 0, v25, vcc_lo
	s_delay_alu instid0(VALU_DEP_2) | instskip(NEXT) | instid1(VALU_DEP_2)
	v_add_co_u32 v19, vcc_lo, v20, v19
	v_add_co_ci_u32_e32 v20, vcc_lo, 0, v21, vcc_lo
	s_delay_alu instid0(VALU_DEP_2) | instskip(NEXT) | instid1(VALU_DEP_2)
	v_add_co_u32 v21, vcc_lo, v15, v19
	v_add_co_ci_u32_e32 v23, vcc_lo, v16, v20, vcc_lo
	s_delay_alu instid0(VALU_DEP_2) | instskip(SKIP_1) | instid1(VALU_DEP_3)
	v_mul_hi_u32 v24, v17, v21
	v_mad_u64_u32 v[19:20], null, v18, v21, 0
	v_mad_u64_u32 v[15:16], null, v17, v23, 0
	;; [unrolled: 1-line block ×3, first 2 shown]
	s_delay_alu instid0(VALU_DEP_2) | instskip(NEXT) | instid1(VALU_DEP_3)
	v_add_co_u32 v15, vcc_lo, v24, v15
	v_add_co_ci_u32_e32 v16, vcc_lo, 0, v16, vcc_lo
	s_delay_alu instid0(VALU_DEP_2) | instskip(NEXT) | instid1(VALU_DEP_2)
	v_add_co_u32 v15, vcc_lo, v15, v19
	v_add_co_ci_u32_e32 v15, vcc_lo, v16, v20, vcc_lo
	v_add_co_ci_u32_e32 v16, vcc_lo, 0, v22, vcc_lo
	s_delay_alu instid0(VALU_DEP_2) | instskip(NEXT) | instid1(VALU_DEP_2)
	v_add_co_u32 v19, vcc_lo, v15, v21
	v_add_co_ci_u32_e32 v20, vcc_lo, 0, v16, vcc_lo
	s_delay_alu instid0(VALU_DEP_2) | instskip(SKIP_1) | instid1(VALU_DEP_3)
	v_mul_lo_u32 v21, s39, v19
	v_mad_u64_u32 v[15:16], null, s38, v19, 0
	v_mul_lo_u32 v22, s38, v20
	s_delay_alu instid0(VALU_DEP_2) | instskip(NEXT) | instid1(VALU_DEP_2)
	v_sub_co_u32 v15, vcc_lo, v17, v15
	v_add3_u32 v16, v16, v22, v21
	s_delay_alu instid0(VALU_DEP_1) | instskip(NEXT) | instid1(VALU_DEP_1)
	v_sub_nc_u32_e32 v21, v18, v16
	v_subrev_co_ci_u32_e64 v17, s2, s39, v21, vcc_lo
	v_add_co_u32 v21, s2, v19, 2
	s_delay_alu instid0(VALU_DEP_1) | instskip(SKIP_3) | instid1(VALU_DEP_3)
	v_add_co_ci_u32_e64 v22, s2, 0, v20, s2
	v_sub_co_u32 v23, s2, v15, s38
	v_sub_co_ci_u32_e32 v16, vcc_lo, v18, v16, vcc_lo
	v_subrev_co_ci_u32_e64 v17, s2, 0, v17, s2
	v_cmp_le_u32_e32 vcc_lo, s38, v23
	s_delay_alu instid0(VALU_DEP_3) | instskip(SKIP_1) | instid1(VALU_DEP_4)
	v_cmp_eq_u32_e64 s2, s39, v16
	v_cndmask_b32_e64 v18, 0, -1, vcc_lo
	v_cmp_le_u32_e32 vcc_lo, s39, v17
	v_cndmask_b32_e64 v23, 0, -1, vcc_lo
	v_cmp_le_u32_e32 vcc_lo, s38, v15
	;; [unrolled: 2-line block ×3, first 2 shown]
	v_cndmask_b32_e64 v24, 0, -1, vcc_lo
	v_cmp_eq_u32_e32 vcc_lo, s39, v17
	s_delay_alu instid0(VALU_DEP_2) | instskip(SKIP_3) | instid1(VALU_DEP_3)
	v_cndmask_b32_e64 v15, v24, v15, s2
	v_cndmask_b32_e32 v17, v23, v18, vcc_lo
	v_add_co_u32 v18, vcc_lo, v19, 1
	v_add_co_ci_u32_e32 v23, vcc_lo, 0, v20, vcc_lo
	v_cmp_ne_u32_e32 vcc_lo, 0, v17
	s_delay_alu instid0(VALU_DEP_2) | instskip(SKIP_1) | instid1(VALU_DEP_2)
	v_dual_cndmask_b32 v16, v23, v22 :: v_dual_cndmask_b32 v17, v18, v21
	v_cmp_ne_u32_e32 vcc_lo, 0, v15
	v_dual_cndmask_b32 v16, v20, v16 :: v_dual_cndmask_b32 v15, v19, v17
                                        ; implicit-def: $vgpr17
.LBB10_189:
	s_and_not1_saveexec_b32 s2, s3
	s_cbranch_execz .LBB10_191
; %bb.190:
	v_cvt_f32_u32_e32 v15, s38
	s_sub_i32 s3, 0, s38
	s_delay_alu instid0(VALU_DEP_1) | instskip(SKIP_2) | instid1(VALU_DEP_1)
	v_rcp_iflag_f32_e32 v15, v15
	s_waitcnt_depctr 0xfff
	v_mul_f32_e32 v15, 0x4f7ffffe, v15
	v_cvt_u32_f32_e32 v15, v15
	s_delay_alu instid0(VALU_DEP_1) | instskip(NEXT) | instid1(VALU_DEP_1)
	v_mul_lo_u32 v16, s3, v15
	v_mul_hi_u32 v16, v15, v16
	s_delay_alu instid0(VALU_DEP_1) | instskip(NEXT) | instid1(VALU_DEP_1)
	v_add_nc_u32_e32 v15, v15, v16
	v_mul_hi_u32 v15, v17, v15
	s_delay_alu instid0(VALU_DEP_1) | instskip(NEXT) | instid1(VALU_DEP_1)
	v_mul_lo_u32 v16, v15, s38
	v_sub_nc_u32_e32 v16, v17, v16
	v_add_nc_u32_e32 v17, 1, v15
	s_delay_alu instid0(VALU_DEP_2) | instskip(SKIP_1) | instid1(VALU_DEP_2)
	v_subrev_nc_u32_e32 v18, s38, v16
	v_cmp_le_u32_e32 vcc_lo, s38, v16
	v_dual_cndmask_b32 v16, v16, v18 :: v_dual_cndmask_b32 v15, v15, v17
	s_delay_alu instid0(VALU_DEP_1) | instskip(NEXT) | instid1(VALU_DEP_2)
	v_cmp_le_u32_e32 vcc_lo, s38, v16
	v_dual_mov_b32 v16, 0 :: v_dual_add_nc_u32 v17, 1, v15
	s_delay_alu instid0(VALU_DEP_1)
	v_cndmask_b32_e32 v15, v15, v17, vcc_lo
.LBB10_191:
	s_or_b32 exec_lo, exec_lo, s2
	v_add_co_u32 v19, vcc_lo, 0x800, v31
	v_add_co_ci_u32_e32 v20, vcc_lo, 0, v32, vcc_lo
	v_mov_b32_e32 v17, 0
	s_delay_alu instid0(VALU_DEP_2) | instskip(NEXT) | instid1(VALU_DEP_1)
	v_or_b32_e32 v18, s39, v20
	v_cmp_ne_u64_e32 vcc_lo, 0, v[17:18]
                                        ; implicit-def: $vgpr17_vgpr18
	s_and_saveexec_b32 s2, vcc_lo
	s_delay_alu instid0(SALU_CYCLE_1)
	s_xor_b32 s3, exec_lo, s2
	s_cbranch_execz .LBB10_193
; %bb.192:
	v_cvt_f32_u32_e32 v17, s38
	v_cvt_f32_u32_e32 v18, s39
	s_sub_u32 s2, 0, s38
	s_subb_u32 s4, 0, s39
	s_delay_alu instid0(VALU_DEP_1) | instskip(NEXT) | instid1(VALU_DEP_1)
	v_fmamk_f32 v17, v18, 0x4f800000, v17
	v_rcp_f32_e32 v17, v17
	s_waitcnt_depctr 0xfff
	v_mul_f32_e32 v17, 0x5f7ffffc, v17
	s_delay_alu instid0(VALU_DEP_1) | instskip(NEXT) | instid1(VALU_DEP_1)
	v_mul_f32_e32 v18, 0x2f800000, v17
	v_trunc_f32_e32 v18, v18
	s_delay_alu instid0(VALU_DEP_1) | instskip(SKIP_1) | instid1(VALU_DEP_2)
	v_fmamk_f32 v17, v18, 0xcf800000, v17
	v_cvt_u32_f32_e32 v18, v18
	v_cvt_u32_f32_e32 v17, v17
	s_delay_alu instid0(VALU_DEP_2) | instskip(NEXT) | instid1(VALU_DEP_2)
	v_mul_lo_u32 v21, s2, v18
	v_mul_hi_u32 v22, s2, v17
	v_mul_lo_u32 v23, s4, v17
	s_delay_alu instid0(VALU_DEP_2) | instskip(SKIP_1) | instid1(VALU_DEP_2)
	v_add_nc_u32_e32 v21, v22, v21
	v_mul_lo_u32 v22, s2, v17
	v_add_nc_u32_e32 v21, v21, v23
	s_delay_alu instid0(VALU_DEP_2) | instskip(NEXT) | instid1(VALU_DEP_2)
	v_mul_hi_u32 v23, v17, v22
	v_mul_lo_u32 v24, v17, v21
	v_mul_hi_u32 v25, v17, v21
	v_mul_hi_u32 v26, v18, v22
	v_mul_lo_u32 v22, v18, v22
	v_mul_hi_u32 v27, v18, v21
	v_mul_lo_u32 v21, v18, v21
	v_add_co_u32 v23, vcc_lo, v23, v24
	v_add_co_ci_u32_e32 v24, vcc_lo, 0, v25, vcc_lo
	s_delay_alu instid0(VALU_DEP_2) | instskip(NEXT) | instid1(VALU_DEP_2)
	v_add_co_u32 v22, vcc_lo, v23, v22
	v_add_co_ci_u32_e32 v22, vcc_lo, v24, v26, vcc_lo
	v_add_co_ci_u32_e32 v23, vcc_lo, 0, v27, vcc_lo
	s_delay_alu instid0(VALU_DEP_2) | instskip(NEXT) | instid1(VALU_DEP_2)
	v_add_co_u32 v21, vcc_lo, v22, v21
	v_add_co_ci_u32_e32 v22, vcc_lo, 0, v23, vcc_lo
	s_delay_alu instid0(VALU_DEP_2) | instskip(NEXT) | instid1(VALU_DEP_2)
	v_add_co_u32 v17, vcc_lo, v17, v21
	v_add_co_ci_u32_e32 v18, vcc_lo, v18, v22, vcc_lo
	s_delay_alu instid0(VALU_DEP_2) | instskip(SKIP_1) | instid1(VALU_DEP_3)
	v_mul_hi_u32 v21, s2, v17
	v_mul_lo_u32 v23, s4, v17
	v_mul_lo_u32 v22, s2, v18
	s_delay_alu instid0(VALU_DEP_1) | instskip(SKIP_1) | instid1(VALU_DEP_2)
	v_add_nc_u32_e32 v21, v21, v22
	v_mul_lo_u32 v22, s2, v17
	v_add_nc_u32_e32 v21, v21, v23
	s_delay_alu instid0(VALU_DEP_2) | instskip(NEXT) | instid1(VALU_DEP_2)
	v_mul_hi_u32 v23, v17, v22
	v_mul_lo_u32 v24, v17, v21
	v_mul_hi_u32 v25, v17, v21
	v_mul_hi_u32 v26, v18, v22
	v_mul_lo_u32 v22, v18, v22
	v_mul_hi_u32 v27, v18, v21
	v_mul_lo_u32 v21, v18, v21
	v_add_co_u32 v23, vcc_lo, v23, v24
	v_add_co_ci_u32_e32 v24, vcc_lo, 0, v25, vcc_lo
	s_delay_alu instid0(VALU_DEP_2) | instskip(NEXT) | instid1(VALU_DEP_2)
	v_add_co_u32 v22, vcc_lo, v23, v22
	v_add_co_ci_u32_e32 v22, vcc_lo, v24, v26, vcc_lo
	v_add_co_ci_u32_e32 v23, vcc_lo, 0, v27, vcc_lo
	s_delay_alu instid0(VALU_DEP_2) | instskip(NEXT) | instid1(VALU_DEP_2)
	v_add_co_u32 v21, vcc_lo, v22, v21
	v_add_co_ci_u32_e32 v22, vcc_lo, 0, v23, vcc_lo
	s_delay_alu instid0(VALU_DEP_2) | instskip(NEXT) | instid1(VALU_DEP_2)
	v_add_co_u32 v23, vcc_lo, v17, v21
	v_add_co_ci_u32_e32 v25, vcc_lo, v18, v22, vcc_lo
	s_delay_alu instid0(VALU_DEP_2) | instskip(SKIP_1) | instid1(VALU_DEP_3)
	v_mul_hi_u32 v26, v19, v23
	v_mad_u64_u32 v[21:22], null, v20, v23, 0
	v_mad_u64_u32 v[17:18], null, v19, v25, 0
	;; [unrolled: 1-line block ×3, first 2 shown]
	s_delay_alu instid0(VALU_DEP_2) | instskip(NEXT) | instid1(VALU_DEP_3)
	v_add_co_u32 v17, vcc_lo, v26, v17
	v_add_co_ci_u32_e32 v18, vcc_lo, 0, v18, vcc_lo
	s_delay_alu instid0(VALU_DEP_2) | instskip(NEXT) | instid1(VALU_DEP_2)
	v_add_co_u32 v17, vcc_lo, v17, v21
	v_add_co_ci_u32_e32 v17, vcc_lo, v18, v22, vcc_lo
	v_add_co_ci_u32_e32 v18, vcc_lo, 0, v24, vcc_lo
	s_delay_alu instid0(VALU_DEP_2) | instskip(NEXT) | instid1(VALU_DEP_2)
	v_add_co_u32 v21, vcc_lo, v17, v23
	v_add_co_ci_u32_e32 v22, vcc_lo, 0, v18, vcc_lo
	s_delay_alu instid0(VALU_DEP_2) | instskip(SKIP_1) | instid1(VALU_DEP_3)
	v_mul_lo_u32 v23, s39, v21
	v_mad_u64_u32 v[17:18], null, s38, v21, 0
	v_mul_lo_u32 v24, s38, v22
	s_delay_alu instid0(VALU_DEP_2) | instskip(NEXT) | instid1(VALU_DEP_2)
	v_sub_co_u32 v17, vcc_lo, v19, v17
	v_add3_u32 v18, v18, v24, v23
	s_delay_alu instid0(VALU_DEP_1) | instskip(NEXT) | instid1(VALU_DEP_1)
	v_sub_nc_u32_e32 v23, v20, v18
	v_subrev_co_ci_u32_e64 v19, s2, s39, v23, vcc_lo
	v_add_co_u32 v23, s2, v21, 2
	s_delay_alu instid0(VALU_DEP_1) | instskip(SKIP_3) | instid1(VALU_DEP_3)
	v_add_co_ci_u32_e64 v24, s2, 0, v22, s2
	v_sub_co_u32 v25, s2, v17, s38
	v_sub_co_ci_u32_e32 v18, vcc_lo, v20, v18, vcc_lo
	v_subrev_co_ci_u32_e64 v19, s2, 0, v19, s2
	v_cmp_le_u32_e32 vcc_lo, s38, v25
	s_delay_alu instid0(VALU_DEP_3) | instskip(SKIP_1) | instid1(VALU_DEP_4)
	v_cmp_eq_u32_e64 s2, s39, v18
	v_cndmask_b32_e64 v20, 0, -1, vcc_lo
	v_cmp_le_u32_e32 vcc_lo, s39, v19
	v_cndmask_b32_e64 v25, 0, -1, vcc_lo
	v_cmp_le_u32_e32 vcc_lo, s38, v17
	;; [unrolled: 2-line block ×3, first 2 shown]
	v_cndmask_b32_e64 v26, 0, -1, vcc_lo
	v_cmp_eq_u32_e32 vcc_lo, s39, v19
	s_delay_alu instid0(VALU_DEP_2) | instskip(SKIP_3) | instid1(VALU_DEP_3)
	v_cndmask_b32_e64 v17, v26, v17, s2
	v_cndmask_b32_e32 v19, v25, v20, vcc_lo
	v_add_co_u32 v20, vcc_lo, v21, 1
	v_add_co_ci_u32_e32 v25, vcc_lo, 0, v22, vcc_lo
	v_cmp_ne_u32_e32 vcc_lo, 0, v19
	s_delay_alu instid0(VALU_DEP_2) | instskip(SKIP_1) | instid1(VALU_DEP_2)
	v_dual_cndmask_b32 v18, v25, v24 :: v_dual_cndmask_b32 v19, v20, v23
	v_cmp_ne_u32_e32 vcc_lo, 0, v17
	v_dual_cndmask_b32 v18, v22, v18 :: v_dual_cndmask_b32 v17, v21, v19
                                        ; implicit-def: $vgpr19
.LBB10_193:
	s_and_not1_saveexec_b32 s2, s3
	s_cbranch_execz .LBB10_195
; %bb.194:
	v_cvt_f32_u32_e32 v17, s38
	s_sub_i32 s3, 0, s38
	s_delay_alu instid0(VALU_DEP_1) | instskip(SKIP_2) | instid1(VALU_DEP_1)
	v_rcp_iflag_f32_e32 v17, v17
	s_waitcnt_depctr 0xfff
	v_mul_f32_e32 v17, 0x4f7ffffe, v17
	v_cvt_u32_f32_e32 v17, v17
	s_delay_alu instid0(VALU_DEP_1) | instskip(NEXT) | instid1(VALU_DEP_1)
	v_mul_lo_u32 v18, s3, v17
	v_mul_hi_u32 v18, v17, v18
	s_delay_alu instid0(VALU_DEP_1) | instskip(NEXT) | instid1(VALU_DEP_1)
	v_add_nc_u32_e32 v17, v17, v18
	v_mul_hi_u32 v17, v19, v17
	s_delay_alu instid0(VALU_DEP_1) | instskip(NEXT) | instid1(VALU_DEP_1)
	v_mul_lo_u32 v18, v17, s38
	v_sub_nc_u32_e32 v18, v19, v18
	v_add_nc_u32_e32 v19, 1, v17
	s_delay_alu instid0(VALU_DEP_2) | instskip(SKIP_1) | instid1(VALU_DEP_2)
	v_subrev_nc_u32_e32 v20, s38, v18
	v_cmp_le_u32_e32 vcc_lo, s38, v18
	v_dual_cndmask_b32 v18, v18, v20 :: v_dual_cndmask_b32 v17, v17, v19
	s_delay_alu instid0(VALU_DEP_1) | instskip(NEXT) | instid1(VALU_DEP_2)
	v_cmp_le_u32_e32 vcc_lo, s38, v18
	v_dual_mov_b32 v18, 0 :: v_dual_add_nc_u32 v19, 1, v17
	s_delay_alu instid0(VALU_DEP_1)
	v_cndmask_b32_e32 v17, v17, v19, vcc_lo
.LBB10_195:
	s_or_b32 exec_lo, exec_lo, s2
	v_add_co_u32 v21, vcc_lo, 0x900, v31
	v_add_co_ci_u32_e32 v22, vcc_lo, 0, v32, vcc_lo
	v_mov_b32_e32 v19, 0
	s_delay_alu instid0(VALU_DEP_2) | instskip(NEXT) | instid1(VALU_DEP_1)
	v_or_b32_e32 v20, s39, v22
	v_cmp_ne_u64_e32 vcc_lo, 0, v[19:20]
                                        ; implicit-def: $vgpr19_vgpr20
	s_and_saveexec_b32 s2, vcc_lo
	s_delay_alu instid0(SALU_CYCLE_1)
	s_xor_b32 s3, exec_lo, s2
	s_cbranch_execz .LBB10_197
; %bb.196:
	v_cvt_f32_u32_e32 v19, s38
	v_cvt_f32_u32_e32 v20, s39
	s_sub_u32 s2, 0, s38
	s_subb_u32 s4, 0, s39
	s_delay_alu instid0(VALU_DEP_1) | instskip(NEXT) | instid1(VALU_DEP_1)
	v_fmamk_f32 v19, v20, 0x4f800000, v19
	v_rcp_f32_e32 v19, v19
	s_waitcnt_depctr 0xfff
	v_mul_f32_e32 v19, 0x5f7ffffc, v19
	s_delay_alu instid0(VALU_DEP_1) | instskip(NEXT) | instid1(VALU_DEP_1)
	v_mul_f32_e32 v20, 0x2f800000, v19
	v_trunc_f32_e32 v20, v20
	s_delay_alu instid0(VALU_DEP_1) | instskip(SKIP_1) | instid1(VALU_DEP_2)
	v_fmamk_f32 v19, v20, 0xcf800000, v19
	v_cvt_u32_f32_e32 v20, v20
	v_cvt_u32_f32_e32 v19, v19
	s_delay_alu instid0(VALU_DEP_2) | instskip(NEXT) | instid1(VALU_DEP_2)
	v_mul_lo_u32 v23, s2, v20
	v_mul_hi_u32 v24, s2, v19
	v_mul_lo_u32 v25, s4, v19
	s_delay_alu instid0(VALU_DEP_2) | instskip(SKIP_1) | instid1(VALU_DEP_2)
	v_add_nc_u32_e32 v23, v24, v23
	v_mul_lo_u32 v24, s2, v19
	v_add_nc_u32_e32 v23, v23, v25
	s_delay_alu instid0(VALU_DEP_2) | instskip(NEXT) | instid1(VALU_DEP_2)
	v_mul_hi_u32 v25, v19, v24
	v_mul_lo_u32 v26, v19, v23
	v_mul_hi_u32 v27, v19, v23
	v_mul_hi_u32 v28, v20, v24
	v_mul_lo_u32 v24, v20, v24
	v_mul_hi_u32 v29, v20, v23
	v_mul_lo_u32 v23, v20, v23
	v_add_co_u32 v25, vcc_lo, v25, v26
	v_add_co_ci_u32_e32 v26, vcc_lo, 0, v27, vcc_lo
	s_delay_alu instid0(VALU_DEP_2) | instskip(NEXT) | instid1(VALU_DEP_2)
	v_add_co_u32 v24, vcc_lo, v25, v24
	v_add_co_ci_u32_e32 v24, vcc_lo, v26, v28, vcc_lo
	v_add_co_ci_u32_e32 v25, vcc_lo, 0, v29, vcc_lo
	s_delay_alu instid0(VALU_DEP_2) | instskip(NEXT) | instid1(VALU_DEP_2)
	v_add_co_u32 v23, vcc_lo, v24, v23
	v_add_co_ci_u32_e32 v24, vcc_lo, 0, v25, vcc_lo
	s_delay_alu instid0(VALU_DEP_2) | instskip(NEXT) | instid1(VALU_DEP_2)
	v_add_co_u32 v19, vcc_lo, v19, v23
	v_add_co_ci_u32_e32 v20, vcc_lo, v20, v24, vcc_lo
	s_delay_alu instid0(VALU_DEP_2) | instskip(SKIP_1) | instid1(VALU_DEP_3)
	v_mul_hi_u32 v23, s2, v19
	v_mul_lo_u32 v25, s4, v19
	v_mul_lo_u32 v24, s2, v20
	s_delay_alu instid0(VALU_DEP_1) | instskip(SKIP_1) | instid1(VALU_DEP_2)
	v_add_nc_u32_e32 v23, v23, v24
	v_mul_lo_u32 v24, s2, v19
	v_add_nc_u32_e32 v23, v23, v25
	s_delay_alu instid0(VALU_DEP_2) | instskip(NEXT) | instid1(VALU_DEP_2)
	v_mul_hi_u32 v25, v19, v24
	v_mul_lo_u32 v26, v19, v23
	v_mul_hi_u32 v27, v19, v23
	v_mul_hi_u32 v28, v20, v24
	v_mul_lo_u32 v24, v20, v24
	v_mul_hi_u32 v29, v20, v23
	v_mul_lo_u32 v23, v20, v23
	v_add_co_u32 v25, vcc_lo, v25, v26
	v_add_co_ci_u32_e32 v26, vcc_lo, 0, v27, vcc_lo
	s_delay_alu instid0(VALU_DEP_2) | instskip(NEXT) | instid1(VALU_DEP_2)
	v_add_co_u32 v24, vcc_lo, v25, v24
	v_add_co_ci_u32_e32 v24, vcc_lo, v26, v28, vcc_lo
	v_add_co_ci_u32_e32 v25, vcc_lo, 0, v29, vcc_lo
	s_delay_alu instid0(VALU_DEP_2) | instskip(NEXT) | instid1(VALU_DEP_2)
	v_add_co_u32 v23, vcc_lo, v24, v23
	v_add_co_ci_u32_e32 v24, vcc_lo, 0, v25, vcc_lo
	s_delay_alu instid0(VALU_DEP_2) | instskip(NEXT) | instid1(VALU_DEP_2)
	v_add_co_u32 v25, vcc_lo, v19, v23
	v_add_co_ci_u32_e32 v27, vcc_lo, v20, v24, vcc_lo
	s_delay_alu instid0(VALU_DEP_2) | instskip(SKIP_1) | instid1(VALU_DEP_3)
	v_mul_hi_u32 v28, v21, v25
	v_mad_u64_u32 v[23:24], null, v22, v25, 0
	v_mad_u64_u32 v[19:20], null, v21, v27, 0
	;; [unrolled: 1-line block ×3, first 2 shown]
	s_delay_alu instid0(VALU_DEP_2) | instskip(NEXT) | instid1(VALU_DEP_3)
	v_add_co_u32 v19, vcc_lo, v28, v19
	v_add_co_ci_u32_e32 v20, vcc_lo, 0, v20, vcc_lo
	s_delay_alu instid0(VALU_DEP_2) | instskip(NEXT) | instid1(VALU_DEP_2)
	v_add_co_u32 v19, vcc_lo, v19, v23
	v_add_co_ci_u32_e32 v19, vcc_lo, v20, v24, vcc_lo
	v_add_co_ci_u32_e32 v20, vcc_lo, 0, v26, vcc_lo
	s_delay_alu instid0(VALU_DEP_2) | instskip(NEXT) | instid1(VALU_DEP_2)
	v_add_co_u32 v23, vcc_lo, v19, v25
	v_add_co_ci_u32_e32 v24, vcc_lo, 0, v20, vcc_lo
	s_delay_alu instid0(VALU_DEP_2) | instskip(SKIP_1) | instid1(VALU_DEP_3)
	v_mul_lo_u32 v25, s39, v23
	v_mad_u64_u32 v[19:20], null, s38, v23, 0
	v_mul_lo_u32 v26, s38, v24
	s_delay_alu instid0(VALU_DEP_2) | instskip(NEXT) | instid1(VALU_DEP_2)
	v_sub_co_u32 v19, vcc_lo, v21, v19
	v_add3_u32 v20, v20, v26, v25
	s_delay_alu instid0(VALU_DEP_1) | instskip(NEXT) | instid1(VALU_DEP_1)
	v_sub_nc_u32_e32 v25, v22, v20
	v_subrev_co_ci_u32_e64 v21, s2, s39, v25, vcc_lo
	v_add_co_u32 v25, s2, v23, 2
	s_delay_alu instid0(VALU_DEP_1) | instskip(SKIP_3) | instid1(VALU_DEP_3)
	v_add_co_ci_u32_e64 v26, s2, 0, v24, s2
	v_sub_co_u32 v27, s2, v19, s38
	v_sub_co_ci_u32_e32 v20, vcc_lo, v22, v20, vcc_lo
	v_subrev_co_ci_u32_e64 v21, s2, 0, v21, s2
	v_cmp_le_u32_e32 vcc_lo, s38, v27
	s_delay_alu instid0(VALU_DEP_3) | instskip(SKIP_1) | instid1(VALU_DEP_4)
	v_cmp_eq_u32_e64 s2, s39, v20
	v_cndmask_b32_e64 v22, 0, -1, vcc_lo
	v_cmp_le_u32_e32 vcc_lo, s39, v21
	v_cndmask_b32_e64 v27, 0, -1, vcc_lo
	v_cmp_le_u32_e32 vcc_lo, s38, v19
	;; [unrolled: 2-line block ×3, first 2 shown]
	v_cndmask_b32_e64 v28, 0, -1, vcc_lo
	v_cmp_eq_u32_e32 vcc_lo, s39, v21
	s_delay_alu instid0(VALU_DEP_2) | instskip(SKIP_3) | instid1(VALU_DEP_3)
	v_cndmask_b32_e64 v19, v28, v19, s2
	v_cndmask_b32_e32 v21, v27, v22, vcc_lo
	v_add_co_u32 v22, vcc_lo, v23, 1
	v_add_co_ci_u32_e32 v27, vcc_lo, 0, v24, vcc_lo
	v_cmp_ne_u32_e32 vcc_lo, 0, v21
	s_delay_alu instid0(VALU_DEP_2) | instskip(SKIP_1) | instid1(VALU_DEP_2)
	v_dual_cndmask_b32 v20, v27, v26 :: v_dual_cndmask_b32 v21, v22, v25
	v_cmp_ne_u32_e32 vcc_lo, 0, v19
	v_dual_cndmask_b32 v20, v24, v20 :: v_dual_cndmask_b32 v19, v23, v21
                                        ; implicit-def: $vgpr21
.LBB10_197:
	s_and_not1_saveexec_b32 s2, s3
	s_cbranch_execz .LBB10_199
; %bb.198:
	v_cvt_f32_u32_e32 v19, s38
	s_sub_i32 s3, 0, s38
	s_delay_alu instid0(VALU_DEP_1) | instskip(SKIP_2) | instid1(VALU_DEP_1)
	v_rcp_iflag_f32_e32 v19, v19
	s_waitcnt_depctr 0xfff
	v_mul_f32_e32 v19, 0x4f7ffffe, v19
	v_cvt_u32_f32_e32 v19, v19
	s_delay_alu instid0(VALU_DEP_1) | instskip(NEXT) | instid1(VALU_DEP_1)
	v_mul_lo_u32 v20, s3, v19
	v_mul_hi_u32 v20, v19, v20
	s_delay_alu instid0(VALU_DEP_1) | instskip(NEXT) | instid1(VALU_DEP_1)
	v_add_nc_u32_e32 v19, v19, v20
	v_mul_hi_u32 v19, v21, v19
	s_delay_alu instid0(VALU_DEP_1) | instskip(NEXT) | instid1(VALU_DEP_1)
	v_mul_lo_u32 v20, v19, s38
	v_sub_nc_u32_e32 v20, v21, v20
	v_add_nc_u32_e32 v21, 1, v19
	s_delay_alu instid0(VALU_DEP_2) | instskip(SKIP_1) | instid1(VALU_DEP_2)
	v_subrev_nc_u32_e32 v22, s38, v20
	v_cmp_le_u32_e32 vcc_lo, s38, v20
	v_dual_cndmask_b32 v20, v20, v22 :: v_dual_cndmask_b32 v19, v19, v21
	s_delay_alu instid0(VALU_DEP_1) | instskip(NEXT) | instid1(VALU_DEP_2)
	v_cmp_le_u32_e32 vcc_lo, s38, v20
	v_dual_mov_b32 v20, 0 :: v_dual_add_nc_u32 v21, 1, v19
	s_delay_alu instid0(VALU_DEP_1)
	v_cndmask_b32_e32 v19, v19, v21, vcc_lo
.LBB10_199:
	s_or_b32 exec_lo, exec_lo, s2
	v_add_co_u32 v23, vcc_lo, 0xa00, v31
	v_add_co_ci_u32_e32 v24, vcc_lo, 0, v32, vcc_lo
	v_mov_b32_e32 v21, 0
	s_delay_alu instid0(VALU_DEP_2) | instskip(NEXT) | instid1(VALU_DEP_1)
	v_or_b32_e32 v22, s39, v24
	v_cmp_ne_u64_e32 vcc_lo, 0, v[21:22]
                                        ; implicit-def: $vgpr21_vgpr22
	s_and_saveexec_b32 s2, vcc_lo
	s_delay_alu instid0(SALU_CYCLE_1)
	s_xor_b32 s3, exec_lo, s2
	s_cbranch_execz .LBB10_201
; %bb.200:
	v_cvt_f32_u32_e32 v21, s38
	v_cvt_f32_u32_e32 v22, s39
	s_sub_u32 s2, 0, s38
	s_subb_u32 s4, 0, s39
	s_delay_alu instid0(VALU_DEP_1) | instskip(NEXT) | instid1(VALU_DEP_1)
	v_fmamk_f32 v21, v22, 0x4f800000, v21
	v_rcp_f32_e32 v21, v21
	s_waitcnt_depctr 0xfff
	v_mul_f32_e32 v21, 0x5f7ffffc, v21
	s_delay_alu instid0(VALU_DEP_1) | instskip(NEXT) | instid1(VALU_DEP_1)
	v_mul_f32_e32 v22, 0x2f800000, v21
	v_trunc_f32_e32 v22, v22
	s_delay_alu instid0(VALU_DEP_1) | instskip(SKIP_1) | instid1(VALU_DEP_2)
	v_fmamk_f32 v21, v22, 0xcf800000, v21
	v_cvt_u32_f32_e32 v22, v22
	v_cvt_u32_f32_e32 v21, v21
	s_delay_alu instid0(VALU_DEP_2) | instskip(NEXT) | instid1(VALU_DEP_2)
	v_mul_lo_u32 v25, s2, v22
	v_mul_hi_u32 v26, s2, v21
	v_mul_lo_u32 v27, s4, v21
	s_delay_alu instid0(VALU_DEP_2) | instskip(SKIP_1) | instid1(VALU_DEP_2)
	v_add_nc_u32_e32 v25, v26, v25
	v_mul_lo_u32 v26, s2, v21
	v_add_nc_u32_e32 v25, v25, v27
	s_delay_alu instid0(VALU_DEP_2) | instskip(NEXT) | instid1(VALU_DEP_2)
	v_mul_hi_u32 v27, v21, v26
	v_mul_lo_u32 v28, v21, v25
	v_mul_hi_u32 v29, v21, v25
	v_mul_hi_u32 v30, v22, v26
	v_mul_lo_u32 v26, v22, v26
	v_mul_hi_u32 v33, v22, v25
	v_mul_lo_u32 v25, v22, v25
	v_add_co_u32 v27, vcc_lo, v27, v28
	v_add_co_ci_u32_e32 v28, vcc_lo, 0, v29, vcc_lo
	s_delay_alu instid0(VALU_DEP_2) | instskip(NEXT) | instid1(VALU_DEP_2)
	v_add_co_u32 v26, vcc_lo, v27, v26
	v_add_co_ci_u32_e32 v26, vcc_lo, v28, v30, vcc_lo
	v_add_co_ci_u32_e32 v27, vcc_lo, 0, v33, vcc_lo
	s_delay_alu instid0(VALU_DEP_2) | instskip(NEXT) | instid1(VALU_DEP_2)
	v_add_co_u32 v25, vcc_lo, v26, v25
	v_add_co_ci_u32_e32 v26, vcc_lo, 0, v27, vcc_lo
	s_delay_alu instid0(VALU_DEP_2) | instskip(NEXT) | instid1(VALU_DEP_2)
	v_add_co_u32 v21, vcc_lo, v21, v25
	v_add_co_ci_u32_e32 v22, vcc_lo, v22, v26, vcc_lo
	s_delay_alu instid0(VALU_DEP_2) | instskip(SKIP_1) | instid1(VALU_DEP_3)
	v_mul_hi_u32 v25, s2, v21
	v_mul_lo_u32 v27, s4, v21
	v_mul_lo_u32 v26, s2, v22
	s_delay_alu instid0(VALU_DEP_1) | instskip(SKIP_1) | instid1(VALU_DEP_2)
	v_add_nc_u32_e32 v25, v25, v26
	v_mul_lo_u32 v26, s2, v21
	v_add_nc_u32_e32 v25, v25, v27
	s_delay_alu instid0(VALU_DEP_2) | instskip(NEXT) | instid1(VALU_DEP_2)
	v_mul_hi_u32 v27, v21, v26
	v_mul_lo_u32 v28, v21, v25
	v_mul_hi_u32 v29, v21, v25
	v_mul_hi_u32 v30, v22, v26
	v_mul_lo_u32 v26, v22, v26
	v_mul_hi_u32 v33, v22, v25
	v_mul_lo_u32 v25, v22, v25
	v_add_co_u32 v27, vcc_lo, v27, v28
	v_add_co_ci_u32_e32 v28, vcc_lo, 0, v29, vcc_lo
	s_delay_alu instid0(VALU_DEP_2) | instskip(NEXT) | instid1(VALU_DEP_2)
	v_add_co_u32 v26, vcc_lo, v27, v26
	v_add_co_ci_u32_e32 v26, vcc_lo, v28, v30, vcc_lo
	v_add_co_ci_u32_e32 v27, vcc_lo, 0, v33, vcc_lo
	s_delay_alu instid0(VALU_DEP_2) | instskip(NEXT) | instid1(VALU_DEP_2)
	v_add_co_u32 v25, vcc_lo, v26, v25
	v_add_co_ci_u32_e32 v26, vcc_lo, 0, v27, vcc_lo
	s_delay_alu instid0(VALU_DEP_2) | instskip(NEXT) | instid1(VALU_DEP_2)
	v_add_co_u32 v27, vcc_lo, v21, v25
	v_add_co_ci_u32_e32 v29, vcc_lo, v22, v26, vcc_lo
	s_delay_alu instid0(VALU_DEP_2) | instskip(SKIP_1) | instid1(VALU_DEP_3)
	v_mul_hi_u32 v30, v23, v27
	v_mad_u64_u32 v[25:26], null, v24, v27, 0
	v_mad_u64_u32 v[21:22], null, v23, v29, 0
	;; [unrolled: 1-line block ×3, first 2 shown]
	s_delay_alu instid0(VALU_DEP_2) | instskip(NEXT) | instid1(VALU_DEP_3)
	v_add_co_u32 v21, vcc_lo, v30, v21
	v_add_co_ci_u32_e32 v22, vcc_lo, 0, v22, vcc_lo
	s_delay_alu instid0(VALU_DEP_2) | instskip(NEXT) | instid1(VALU_DEP_2)
	v_add_co_u32 v21, vcc_lo, v21, v25
	v_add_co_ci_u32_e32 v21, vcc_lo, v22, v26, vcc_lo
	v_add_co_ci_u32_e32 v22, vcc_lo, 0, v28, vcc_lo
	s_delay_alu instid0(VALU_DEP_2) | instskip(NEXT) | instid1(VALU_DEP_2)
	v_add_co_u32 v25, vcc_lo, v21, v27
	v_add_co_ci_u32_e32 v26, vcc_lo, 0, v22, vcc_lo
	s_delay_alu instid0(VALU_DEP_2) | instskip(SKIP_1) | instid1(VALU_DEP_3)
	v_mul_lo_u32 v27, s39, v25
	v_mad_u64_u32 v[21:22], null, s38, v25, 0
	v_mul_lo_u32 v28, s38, v26
	s_delay_alu instid0(VALU_DEP_2) | instskip(NEXT) | instid1(VALU_DEP_2)
	v_sub_co_u32 v21, vcc_lo, v23, v21
	v_add3_u32 v22, v22, v28, v27
	s_delay_alu instid0(VALU_DEP_1) | instskip(NEXT) | instid1(VALU_DEP_1)
	v_sub_nc_u32_e32 v27, v24, v22
	v_subrev_co_ci_u32_e64 v23, s2, s39, v27, vcc_lo
	v_add_co_u32 v27, s2, v25, 2
	s_delay_alu instid0(VALU_DEP_1) | instskip(SKIP_3) | instid1(VALU_DEP_3)
	v_add_co_ci_u32_e64 v28, s2, 0, v26, s2
	v_sub_co_u32 v29, s2, v21, s38
	v_sub_co_ci_u32_e32 v22, vcc_lo, v24, v22, vcc_lo
	v_subrev_co_ci_u32_e64 v23, s2, 0, v23, s2
	v_cmp_le_u32_e32 vcc_lo, s38, v29
	s_delay_alu instid0(VALU_DEP_3) | instskip(SKIP_1) | instid1(VALU_DEP_4)
	v_cmp_eq_u32_e64 s2, s39, v22
	v_cndmask_b32_e64 v24, 0, -1, vcc_lo
	v_cmp_le_u32_e32 vcc_lo, s39, v23
	v_cndmask_b32_e64 v29, 0, -1, vcc_lo
	v_cmp_le_u32_e32 vcc_lo, s38, v21
	;; [unrolled: 2-line block ×3, first 2 shown]
	v_cndmask_b32_e64 v30, 0, -1, vcc_lo
	v_cmp_eq_u32_e32 vcc_lo, s39, v23
	s_delay_alu instid0(VALU_DEP_2) | instskip(SKIP_3) | instid1(VALU_DEP_3)
	v_cndmask_b32_e64 v21, v30, v21, s2
	v_cndmask_b32_e32 v23, v29, v24, vcc_lo
	v_add_co_u32 v24, vcc_lo, v25, 1
	v_add_co_ci_u32_e32 v29, vcc_lo, 0, v26, vcc_lo
	v_cmp_ne_u32_e32 vcc_lo, 0, v23
	s_delay_alu instid0(VALU_DEP_2) | instskip(SKIP_1) | instid1(VALU_DEP_2)
	v_dual_cndmask_b32 v22, v29, v28 :: v_dual_cndmask_b32 v23, v24, v27
	v_cmp_ne_u32_e32 vcc_lo, 0, v21
	v_dual_cndmask_b32 v22, v26, v22 :: v_dual_cndmask_b32 v21, v25, v23
                                        ; implicit-def: $vgpr23
.LBB10_201:
	s_and_not1_saveexec_b32 s2, s3
	s_cbranch_execz .LBB10_203
; %bb.202:
	v_cvt_f32_u32_e32 v21, s38
	s_sub_i32 s3, 0, s38
	s_delay_alu instid0(VALU_DEP_1) | instskip(SKIP_2) | instid1(VALU_DEP_1)
	v_rcp_iflag_f32_e32 v21, v21
	s_waitcnt_depctr 0xfff
	v_mul_f32_e32 v21, 0x4f7ffffe, v21
	v_cvt_u32_f32_e32 v21, v21
	s_delay_alu instid0(VALU_DEP_1) | instskip(NEXT) | instid1(VALU_DEP_1)
	v_mul_lo_u32 v22, s3, v21
	v_mul_hi_u32 v22, v21, v22
	s_delay_alu instid0(VALU_DEP_1) | instskip(NEXT) | instid1(VALU_DEP_1)
	v_add_nc_u32_e32 v21, v21, v22
	v_mul_hi_u32 v21, v23, v21
	s_delay_alu instid0(VALU_DEP_1) | instskip(NEXT) | instid1(VALU_DEP_1)
	v_mul_lo_u32 v22, v21, s38
	v_sub_nc_u32_e32 v22, v23, v22
	v_add_nc_u32_e32 v23, 1, v21
	s_delay_alu instid0(VALU_DEP_2) | instskip(SKIP_1) | instid1(VALU_DEP_2)
	v_subrev_nc_u32_e32 v24, s38, v22
	v_cmp_le_u32_e32 vcc_lo, s38, v22
	v_dual_cndmask_b32 v22, v22, v24 :: v_dual_cndmask_b32 v21, v21, v23
	s_delay_alu instid0(VALU_DEP_1) | instskip(NEXT) | instid1(VALU_DEP_2)
	v_cmp_le_u32_e32 vcc_lo, s38, v22
	v_dual_mov_b32 v22, 0 :: v_dual_add_nc_u32 v23, 1, v21
	s_delay_alu instid0(VALU_DEP_1)
	v_cndmask_b32_e32 v21, v21, v23, vcc_lo
.LBB10_203:
	s_or_b32 exec_lo, exec_lo, s2
	v_add_co_u32 v25, vcc_lo, 0xb00, v31
	v_add_co_ci_u32_e32 v26, vcc_lo, 0, v32, vcc_lo
	v_mov_b32_e32 v23, 0
	s_delay_alu instid0(VALU_DEP_2) | instskip(NEXT) | instid1(VALU_DEP_1)
	v_or_b32_e32 v24, s39, v26
	v_cmp_ne_u64_e32 vcc_lo, 0, v[23:24]
                                        ; implicit-def: $vgpr23_vgpr24
	s_and_saveexec_b32 s2, vcc_lo
	s_delay_alu instid0(SALU_CYCLE_1)
	s_xor_b32 s3, exec_lo, s2
	s_cbranch_execz .LBB10_205
; %bb.204:
	v_cvt_f32_u32_e32 v23, s38
	v_cvt_f32_u32_e32 v24, s39
	s_sub_u32 s2, 0, s38
	s_subb_u32 s4, 0, s39
	s_delay_alu instid0(VALU_DEP_1) | instskip(NEXT) | instid1(VALU_DEP_1)
	v_fmamk_f32 v23, v24, 0x4f800000, v23
	v_rcp_f32_e32 v23, v23
	s_waitcnt_depctr 0xfff
	v_mul_f32_e32 v23, 0x5f7ffffc, v23
	s_delay_alu instid0(VALU_DEP_1) | instskip(NEXT) | instid1(VALU_DEP_1)
	v_mul_f32_e32 v24, 0x2f800000, v23
	v_trunc_f32_e32 v24, v24
	s_delay_alu instid0(VALU_DEP_1) | instskip(SKIP_1) | instid1(VALU_DEP_2)
	v_fmamk_f32 v23, v24, 0xcf800000, v23
	v_cvt_u32_f32_e32 v24, v24
	v_cvt_u32_f32_e32 v23, v23
	s_delay_alu instid0(VALU_DEP_2) | instskip(NEXT) | instid1(VALU_DEP_2)
	v_mul_lo_u32 v27, s2, v24
	v_mul_hi_u32 v28, s2, v23
	v_mul_lo_u32 v29, s4, v23
	s_delay_alu instid0(VALU_DEP_2) | instskip(SKIP_1) | instid1(VALU_DEP_2)
	v_add_nc_u32_e32 v27, v28, v27
	v_mul_lo_u32 v28, s2, v23
	v_add_nc_u32_e32 v27, v27, v29
	s_delay_alu instid0(VALU_DEP_2) | instskip(NEXT) | instid1(VALU_DEP_2)
	v_mul_hi_u32 v29, v23, v28
	v_mul_lo_u32 v30, v23, v27
	v_mul_hi_u32 v33, v23, v27
	v_mul_hi_u32 v34, v24, v28
	v_mul_lo_u32 v28, v24, v28
	s_waitcnt lgkmcnt(0)
	v_mul_hi_u32 v35, v24, v27
	v_mul_lo_u32 v27, v24, v27
	v_add_co_u32 v29, vcc_lo, v29, v30
	v_add_co_ci_u32_e32 v30, vcc_lo, 0, v33, vcc_lo
	s_delay_alu instid0(VALU_DEP_2) | instskip(NEXT) | instid1(VALU_DEP_2)
	v_add_co_u32 v28, vcc_lo, v29, v28
	v_add_co_ci_u32_e32 v28, vcc_lo, v30, v34, vcc_lo
	v_add_co_ci_u32_e32 v29, vcc_lo, 0, v35, vcc_lo
	s_delay_alu instid0(VALU_DEP_2) | instskip(NEXT) | instid1(VALU_DEP_2)
	v_add_co_u32 v27, vcc_lo, v28, v27
	v_add_co_ci_u32_e32 v28, vcc_lo, 0, v29, vcc_lo
	s_delay_alu instid0(VALU_DEP_2) | instskip(NEXT) | instid1(VALU_DEP_2)
	v_add_co_u32 v23, vcc_lo, v23, v27
	v_add_co_ci_u32_e32 v24, vcc_lo, v24, v28, vcc_lo
	s_delay_alu instid0(VALU_DEP_2) | instskip(SKIP_1) | instid1(VALU_DEP_3)
	v_mul_hi_u32 v27, s2, v23
	v_mul_lo_u32 v29, s4, v23
	v_mul_lo_u32 v28, s2, v24
	s_delay_alu instid0(VALU_DEP_1) | instskip(SKIP_1) | instid1(VALU_DEP_2)
	v_add_nc_u32_e32 v27, v27, v28
	v_mul_lo_u32 v28, s2, v23
	v_add_nc_u32_e32 v27, v27, v29
	s_delay_alu instid0(VALU_DEP_2) | instskip(NEXT) | instid1(VALU_DEP_2)
	v_mul_hi_u32 v29, v23, v28
	v_mul_lo_u32 v30, v23, v27
	v_mul_hi_u32 v33, v23, v27
	v_mul_hi_u32 v34, v24, v28
	v_mul_lo_u32 v28, v24, v28
	v_mul_hi_u32 v35, v24, v27
	v_mul_lo_u32 v27, v24, v27
	v_add_co_u32 v29, vcc_lo, v29, v30
	v_add_co_ci_u32_e32 v30, vcc_lo, 0, v33, vcc_lo
	s_delay_alu instid0(VALU_DEP_2) | instskip(NEXT) | instid1(VALU_DEP_2)
	v_add_co_u32 v28, vcc_lo, v29, v28
	v_add_co_ci_u32_e32 v28, vcc_lo, v30, v34, vcc_lo
	v_add_co_ci_u32_e32 v29, vcc_lo, 0, v35, vcc_lo
	s_delay_alu instid0(VALU_DEP_2) | instskip(NEXT) | instid1(VALU_DEP_2)
	v_add_co_u32 v27, vcc_lo, v28, v27
	v_add_co_ci_u32_e32 v28, vcc_lo, 0, v29, vcc_lo
	s_delay_alu instid0(VALU_DEP_2) | instskip(NEXT) | instid1(VALU_DEP_2)
	v_add_co_u32 v29, vcc_lo, v23, v27
	v_add_co_ci_u32_e32 v33, vcc_lo, v24, v28, vcc_lo
	s_delay_alu instid0(VALU_DEP_2) | instskip(SKIP_1) | instid1(VALU_DEP_3)
	v_mul_hi_u32 v34, v25, v29
	v_mad_u64_u32 v[27:28], null, v26, v29, 0
	v_mad_u64_u32 v[23:24], null, v25, v33, 0
	;; [unrolled: 1-line block ×3, first 2 shown]
	s_delay_alu instid0(VALU_DEP_2) | instskip(NEXT) | instid1(VALU_DEP_3)
	v_add_co_u32 v23, vcc_lo, v34, v23
	v_add_co_ci_u32_e32 v24, vcc_lo, 0, v24, vcc_lo
	s_delay_alu instid0(VALU_DEP_2) | instskip(NEXT) | instid1(VALU_DEP_2)
	v_add_co_u32 v23, vcc_lo, v23, v27
	v_add_co_ci_u32_e32 v23, vcc_lo, v24, v28, vcc_lo
	v_add_co_ci_u32_e32 v24, vcc_lo, 0, v30, vcc_lo
	s_delay_alu instid0(VALU_DEP_2) | instskip(NEXT) | instid1(VALU_DEP_2)
	v_add_co_u32 v27, vcc_lo, v23, v29
	v_add_co_ci_u32_e32 v28, vcc_lo, 0, v24, vcc_lo
	s_delay_alu instid0(VALU_DEP_2) | instskip(SKIP_1) | instid1(VALU_DEP_3)
	v_mul_lo_u32 v29, s39, v27
	v_mad_u64_u32 v[23:24], null, s38, v27, 0
	v_mul_lo_u32 v30, s38, v28
	s_delay_alu instid0(VALU_DEP_2) | instskip(NEXT) | instid1(VALU_DEP_2)
	v_sub_co_u32 v23, vcc_lo, v25, v23
	v_add3_u32 v24, v24, v30, v29
	s_delay_alu instid0(VALU_DEP_1) | instskip(NEXT) | instid1(VALU_DEP_1)
	v_sub_nc_u32_e32 v29, v26, v24
	v_subrev_co_ci_u32_e64 v25, s2, s39, v29, vcc_lo
	v_add_co_u32 v29, s2, v27, 2
	s_delay_alu instid0(VALU_DEP_1) | instskip(SKIP_3) | instid1(VALU_DEP_3)
	v_add_co_ci_u32_e64 v30, s2, 0, v28, s2
	v_sub_co_u32 v33, s2, v23, s38
	v_sub_co_ci_u32_e32 v24, vcc_lo, v26, v24, vcc_lo
	v_subrev_co_ci_u32_e64 v25, s2, 0, v25, s2
	v_cmp_le_u32_e32 vcc_lo, s38, v33
	s_delay_alu instid0(VALU_DEP_3) | instskip(SKIP_1) | instid1(VALU_DEP_4)
	v_cmp_eq_u32_e64 s2, s39, v24
	v_cndmask_b32_e64 v26, 0, -1, vcc_lo
	v_cmp_le_u32_e32 vcc_lo, s39, v25
	v_cndmask_b32_e64 v33, 0, -1, vcc_lo
	v_cmp_le_u32_e32 vcc_lo, s38, v23
	;; [unrolled: 2-line block ×3, first 2 shown]
	v_cndmask_b32_e64 v34, 0, -1, vcc_lo
	v_cmp_eq_u32_e32 vcc_lo, s39, v25
	s_delay_alu instid0(VALU_DEP_2) | instskip(SKIP_3) | instid1(VALU_DEP_3)
	v_cndmask_b32_e64 v23, v34, v23, s2
	v_cndmask_b32_e32 v25, v33, v26, vcc_lo
	v_add_co_u32 v26, vcc_lo, v27, 1
	v_add_co_ci_u32_e32 v33, vcc_lo, 0, v28, vcc_lo
	v_cmp_ne_u32_e32 vcc_lo, 0, v25
	s_delay_alu instid0(VALU_DEP_2) | instskip(SKIP_1) | instid1(VALU_DEP_2)
	v_dual_cndmask_b32 v24, v33, v30 :: v_dual_cndmask_b32 v25, v26, v29
	v_cmp_ne_u32_e32 vcc_lo, 0, v23
	v_dual_cndmask_b32 v24, v28, v24 :: v_dual_cndmask_b32 v23, v27, v25
                                        ; implicit-def: $vgpr25
.LBB10_205:
	s_and_not1_saveexec_b32 s2, s3
	s_cbranch_execz .LBB10_207
; %bb.206:
	v_cvt_f32_u32_e32 v23, s38
	s_sub_i32 s3, 0, s38
	s_delay_alu instid0(VALU_DEP_1) | instskip(SKIP_2) | instid1(VALU_DEP_1)
	v_rcp_iflag_f32_e32 v23, v23
	s_waitcnt_depctr 0xfff
	v_mul_f32_e32 v23, 0x4f7ffffe, v23
	v_cvt_u32_f32_e32 v23, v23
	s_delay_alu instid0(VALU_DEP_1) | instskip(NEXT) | instid1(VALU_DEP_1)
	v_mul_lo_u32 v24, s3, v23
	v_mul_hi_u32 v24, v23, v24
	s_delay_alu instid0(VALU_DEP_1) | instskip(NEXT) | instid1(VALU_DEP_1)
	v_add_nc_u32_e32 v23, v23, v24
	v_mul_hi_u32 v23, v25, v23
	s_delay_alu instid0(VALU_DEP_1) | instskip(NEXT) | instid1(VALU_DEP_1)
	v_mul_lo_u32 v24, v23, s38
	v_sub_nc_u32_e32 v24, v25, v24
	v_add_nc_u32_e32 v25, 1, v23
	s_delay_alu instid0(VALU_DEP_2) | instskip(SKIP_1) | instid1(VALU_DEP_2)
	v_subrev_nc_u32_e32 v26, s38, v24
	v_cmp_le_u32_e32 vcc_lo, s38, v24
	v_dual_cndmask_b32 v24, v24, v26 :: v_dual_cndmask_b32 v23, v23, v25
	s_delay_alu instid0(VALU_DEP_1) | instskip(NEXT) | instid1(VALU_DEP_2)
	v_cmp_le_u32_e32 vcc_lo, s38, v24
	v_dual_mov_b32 v24, 0 :: v_dual_add_nc_u32 v25, 1, v23
	s_delay_alu instid0(VALU_DEP_1)
	v_cndmask_b32_e32 v23, v23, v25, vcc_lo
.LBB10_207:
	s_or_b32 exec_lo, exec_lo, s2
	v_add_co_u32 v27, vcc_lo, 0xc00, v31
	v_add_co_ci_u32_e32 v28, vcc_lo, 0, v32, vcc_lo
	v_mov_b32_e32 v25, 0
	s_delay_alu instid0(VALU_DEP_2) | instskip(NEXT) | instid1(VALU_DEP_1)
	v_or_b32_e32 v26, s39, v28
	v_cmp_ne_u64_e32 vcc_lo, 0, v[25:26]
                                        ; implicit-def: $vgpr25_vgpr26
	s_and_saveexec_b32 s2, vcc_lo
	s_delay_alu instid0(SALU_CYCLE_1)
	s_xor_b32 s3, exec_lo, s2
	s_cbranch_execz .LBB10_209
; %bb.208:
	v_cvt_f32_u32_e32 v25, s38
	v_cvt_f32_u32_e32 v26, s39
	s_sub_u32 s2, 0, s38
	s_subb_u32 s4, 0, s39
	s_delay_alu instid0(VALU_DEP_1) | instskip(NEXT) | instid1(VALU_DEP_1)
	v_fmamk_f32 v25, v26, 0x4f800000, v25
	v_rcp_f32_e32 v25, v25
	s_waitcnt_depctr 0xfff
	v_mul_f32_e32 v25, 0x5f7ffffc, v25
	s_delay_alu instid0(VALU_DEP_1) | instskip(NEXT) | instid1(VALU_DEP_1)
	v_mul_f32_e32 v26, 0x2f800000, v25
	v_trunc_f32_e32 v26, v26
	s_delay_alu instid0(VALU_DEP_1) | instskip(SKIP_1) | instid1(VALU_DEP_2)
	v_fmamk_f32 v25, v26, 0xcf800000, v25
	v_cvt_u32_f32_e32 v26, v26
	v_cvt_u32_f32_e32 v25, v25
	s_delay_alu instid0(VALU_DEP_2) | instskip(NEXT) | instid1(VALU_DEP_2)
	v_mul_lo_u32 v29, s2, v26
	v_mul_hi_u32 v30, s2, v25
	v_mul_lo_u32 v33, s4, v25
	s_delay_alu instid0(VALU_DEP_2) | instskip(SKIP_1) | instid1(VALU_DEP_2)
	v_add_nc_u32_e32 v29, v30, v29
	v_mul_lo_u32 v30, s2, v25
	v_add_nc_u32_e32 v29, v29, v33
	s_delay_alu instid0(VALU_DEP_2) | instskip(NEXT) | instid1(VALU_DEP_2)
	v_mul_hi_u32 v33, v25, v30
	v_mul_lo_u32 v34, v25, v29
	s_waitcnt lgkmcnt(0)
	v_mul_hi_u32 v35, v25, v29
	v_mul_hi_u32 v36, v26, v30
	v_mul_lo_u32 v30, v26, v30
	v_mul_hi_u32 v37, v26, v29
	v_mul_lo_u32 v29, v26, v29
	v_add_co_u32 v33, vcc_lo, v33, v34
	v_add_co_ci_u32_e32 v34, vcc_lo, 0, v35, vcc_lo
	s_delay_alu instid0(VALU_DEP_2) | instskip(NEXT) | instid1(VALU_DEP_2)
	v_add_co_u32 v30, vcc_lo, v33, v30
	v_add_co_ci_u32_e32 v30, vcc_lo, v34, v36, vcc_lo
	v_add_co_ci_u32_e32 v33, vcc_lo, 0, v37, vcc_lo
	s_delay_alu instid0(VALU_DEP_2) | instskip(NEXT) | instid1(VALU_DEP_2)
	v_add_co_u32 v29, vcc_lo, v30, v29
	v_add_co_ci_u32_e32 v30, vcc_lo, 0, v33, vcc_lo
	s_delay_alu instid0(VALU_DEP_2) | instskip(NEXT) | instid1(VALU_DEP_2)
	v_add_co_u32 v25, vcc_lo, v25, v29
	v_add_co_ci_u32_e32 v26, vcc_lo, v26, v30, vcc_lo
	s_delay_alu instid0(VALU_DEP_2) | instskip(SKIP_1) | instid1(VALU_DEP_3)
	v_mul_hi_u32 v29, s2, v25
	v_mul_lo_u32 v33, s4, v25
	v_mul_lo_u32 v30, s2, v26
	s_delay_alu instid0(VALU_DEP_1) | instskip(SKIP_1) | instid1(VALU_DEP_2)
	v_add_nc_u32_e32 v29, v29, v30
	v_mul_lo_u32 v30, s2, v25
	v_add_nc_u32_e32 v29, v29, v33
	s_delay_alu instid0(VALU_DEP_2) | instskip(NEXT) | instid1(VALU_DEP_2)
	v_mul_hi_u32 v33, v25, v30
	v_mul_lo_u32 v34, v25, v29
	v_mul_hi_u32 v35, v25, v29
	v_mul_hi_u32 v36, v26, v30
	v_mul_lo_u32 v30, v26, v30
	v_mul_hi_u32 v37, v26, v29
	v_mul_lo_u32 v29, v26, v29
	v_add_co_u32 v33, vcc_lo, v33, v34
	v_add_co_ci_u32_e32 v34, vcc_lo, 0, v35, vcc_lo
	s_delay_alu instid0(VALU_DEP_2) | instskip(NEXT) | instid1(VALU_DEP_2)
	v_add_co_u32 v30, vcc_lo, v33, v30
	v_add_co_ci_u32_e32 v30, vcc_lo, v34, v36, vcc_lo
	v_add_co_ci_u32_e32 v33, vcc_lo, 0, v37, vcc_lo
	s_delay_alu instid0(VALU_DEP_2) | instskip(NEXT) | instid1(VALU_DEP_2)
	v_add_co_u32 v29, vcc_lo, v30, v29
	v_add_co_ci_u32_e32 v30, vcc_lo, 0, v33, vcc_lo
	s_delay_alu instid0(VALU_DEP_2) | instskip(NEXT) | instid1(VALU_DEP_2)
	v_add_co_u32 v33, vcc_lo, v25, v29
	v_add_co_ci_u32_e32 v35, vcc_lo, v26, v30, vcc_lo
	s_delay_alu instid0(VALU_DEP_2) | instskip(SKIP_1) | instid1(VALU_DEP_3)
	v_mul_hi_u32 v36, v27, v33
	v_mad_u64_u32 v[29:30], null, v28, v33, 0
	v_mad_u64_u32 v[25:26], null, v27, v35, 0
	v_mad_u64_u32 v[33:34], null, v28, v35, 0
	s_delay_alu instid0(VALU_DEP_2) | instskip(NEXT) | instid1(VALU_DEP_3)
	v_add_co_u32 v25, vcc_lo, v36, v25
	v_add_co_ci_u32_e32 v26, vcc_lo, 0, v26, vcc_lo
	s_delay_alu instid0(VALU_DEP_2) | instskip(NEXT) | instid1(VALU_DEP_2)
	v_add_co_u32 v25, vcc_lo, v25, v29
	v_add_co_ci_u32_e32 v25, vcc_lo, v26, v30, vcc_lo
	v_add_co_ci_u32_e32 v26, vcc_lo, 0, v34, vcc_lo
	s_delay_alu instid0(VALU_DEP_2) | instskip(NEXT) | instid1(VALU_DEP_2)
	v_add_co_u32 v29, vcc_lo, v25, v33
	v_add_co_ci_u32_e32 v30, vcc_lo, 0, v26, vcc_lo
	s_delay_alu instid0(VALU_DEP_2) | instskip(SKIP_1) | instid1(VALU_DEP_3)
	v_mul_lo_u32 v33, s39, v29
	v_mad_u64_u32 v[25:26], null, s38, v29, 0
	v_mul_lo_u32 v34, s38, v30
	s_delay_alu instid0(VALU_DEP_2) | instskip(NEXT) | instid1(VALU_DEP_2)
	v_sub_co_u32 v25, vcc_lo, v27, v25
	v_add3_u32 v26, v26, v34, v33
	s_delay_alu instid0(VALU_DEP_1) | instskip(NEXT) | instid1(VALU_DEP_1)
	v_sub_nc_u32_e32 v33, v28, v26
	v_subrev_co_ci_u32_e64 v27, s2, s39, v33, vcc_lo
	v_add_co_u32 v33, s2, v29, 2
	s_delay_alu instid0(VALU_DEP_1) | instskip(SKIP_3) | instid1(VALU_DEP_3)
	v_add_co_ci_u32_e64 v34, s2, 0, v30, s2
	v_sub_co_u32 v35, s2, v25, s38
	v_sub_co_ci_u32_e32 v26, vcc_lo, v28, v26, vcc_lo
	v_subrev_co_ci_u32_e64 v27, s2, 0, v27, s2
	v_cmp_le_u32_e32 vcc_lo, s38, v35
	s_delay_alu instid0(VALU_DEP_3) | instskip(SKIP_1) | instid1(VALU_DEP_4)
	v_cmp_eq_u32_e64 s2, s39, v26
	v_cndmask_b32_e64 v28, 0, -1, vcc_lo
	v_cmp_le_u32_e32 vcc_lo, s39, v27
	v_cndmask_b32_e64 v35, 0, -1, vcc_lo
	v_cmp_le_u32_e32 vcc_lo, s38, v25
	;; [unrolled: 2-line block ×3, first 2 shown]
	v_cndmask_b32_e64 v36, 0, -1, vcc_lo
	v_cmp_eq_u32_e32 vcc_lo, s39, v27
	s_delay_alu instid0(VALU_DEP_2) | instskip(SKIP_3) | instid1(VALU_DEP_3)
	v_cndmask_b32_e64 v25, v36, v25, s2
	v_cndmask_b32_e32 v27, v35, v28, vcc_lo
	v_add_co_u32 v28, vcc_lo, v29, 1
	v_add_co_ci_u32_e32 v35, vcc_lo, 0, v30, vcc_lo
	v_cmp_ne_u32_e32 vcc_lo, 0, v27
	s_delay_alu instid0(VALU_DEP_2) | instskip(SKIP_1) | instid1(VALU_DEP_2)
	v_dual_cndmask_b32 v26, v35, v34 :: v_dual_cndmask_b32 v27, v28, v33
	v_cmp_ne_u32_e32 vcc_lo, 0, v25
	v_dual_cndmask_b32 v26, v30, v26 :: v_dual_cndmask_b32 v25, v29, v27
                                        ; implicit-def: $vgpr27
.LBB10_209:
	s_and_not1_saveexec_b32 s2, s3
	s_cbranch_execz .LBB10_211
; %bb.210:
	v_cvt_f32_u32_e32 v25, s38
	s_sub_i32 s3, 0, s38
	s_delay_alu instid0(VALU_DEP_1) | instskip(SKIP_2) | instid1(VALU_DEP_1)
	v_rcp_iflag_f32_e32 v25, v25
	s_waitcnt_depctr 0xfff
	v_mul_f32_e32 v25, 0x4f7ffffe, v25
	v_cvt_u32_f32_e32 v25, v25
	s_delay_alu instid0(VALU_DEP_1) | instskip(NEXT) | instid1(VALU_DEP_1)
	v_mul_lo_u32 v26, s3, v25
	v_mul_hi_u32 v26, v25, v26
	s_delay_alu instid0(VALU_DEP_1) | instskip(NEXT) | instid1(VALU_DEP_1)
	v_add_nc_u32_e32 v25, v25, v26
	v_mul_hi_u32 v25, v27, v25
	s_delay_alu instid0(VALU_DEP_1) | instskip(NEXT) | instid1(VALU_DEP_1)
	v_mul_lo_u32 v26, v25, s38
	v_sub_nc_u32_e32 v26, v27, v26
	v_add_nc_u32_e32 v27, 1, v25
	s_delay_alu instid0(VALU_DEP_2) | instskip(SKIP_1) | instid1(VALU_DEP_2)
	v_subrev_nc_u32_e32 v28, s38, v26
	v_cmp_le_u32_e32 vcc_lo, s38, v26
	v_dual_cndmask_b32 v26, v26, v28 :: v_dual_cndmask_b32 v25, v25, v27
	s_delay_alu instid0(VALU_DEP_1) | instskip(NEXT) | instid1(VALU_DEP_2)
	v_cmp_le_u32_e32 vcc_lo, s38, v26
	v_dual_mov_b32 v26, 0 :: v_dual_add_nc_u32 v27, 1, v25
	s_delay_alu instid0(VALU_DEP_1)
	v_cndmask_b32_e32 v25, v25, v27, vcc_lo
.LBB10_211:
	s_or_b32 exec_lo, exec_lo, s2
	v_add_co_u32 v29, vcc_lo, 0xd00, v31
	v_add_co_ci_u32_e32 v30, vcc_lo, 0, v32, vcc_lo
	v_mov_b32_e32 v27, 0
	s_delay_alu instid0(VALU_DEP_2) | instskip(NEXT) | instid1(VALU_DEP_1)
	v_or_b32_e32 v28, s39, v30
	v_cmp_ne_u64_e32 vcc_lo, 0, v[27:28]
                                        ; implicit-def: $vgpr27_vgpr28
	s_and_saveexec_b32 s2, vcc_lo
	s_delay_alu instid0(SALU_CYCLE_1)
	s_xor_b32 s3, exec_lo, s2
	s_cbranch_execz .LBB10_213
; %bb.212:
	v_cvt_f32_u32_e32 v27, s38
	v_cvt_f32_u32_e32 v28, s39
	s_sub_u32 s2, 0, s38
	s_subb_u32 s4, 0, s39
	s_delay_alu instid0(VALU_DEP_1) | instskip(NEXT) | instid1(VALU_DEP_1)
	v_fmamk_f32 v27, v28, 0x4f800000, v27
	v_rcp_f32_e32 v27, v27
	s_waitcnt_depctr 0xfff
	v_mul_f32_e32 v27, 0x5f7ffffc, v27
	s_delay_alu instid0(VALU_DEP_1) | instskip(NEXT) | instid1(VALU_DEP_1)
	v_mul_f32_e32 v28, 0x2f800000, v27
	v_trunc_f32_e32 v28, v28
	s_delay_alu instid0(VALU_DEP_1) | instskip(SKIP_1) | instid1(VALU_DEP_2)
	v_fmamk_f32 v27, v28, 0xcf800000, v27
	v_cvt_u32_f32_e32 v28, v28
	v_cvt_u32_f32_e32 v27, v27
	s_delay_alu instid0(VALU_DEP_2) | instskip(NEXT) | instid1(VALU_DEP_2)
	v_mul_lo_u32 v33, s2, v28
	v_mul_hi_u32 v34, s2, v27
	s_waitcnt lgkmcnt(0)
	v_mul_lo_u32 v35, s4, v27
	s_delay_alu instid0(VALU_DEP_2) | instskip(SKIP_1) | instid1(VALU_DEP_2)
	v_add_nc_u32_e32 v33, v34, v33
	v_mul_lo_u32 v34, s2, v27
	v_add_nc_u32_e32 v33, v33, v35
	s_delay_alu instid0(VALU_DEP_2) | instskip(NEXT) | instid1(VALU_DEP_2)
	v_mul_hi_u32 v35, v27, v34
	v_mul_lo_u32 v36, v27, v33
	v_mul_hi_u32 v37, v27, v33
	v_mul_hi_u32 v38, v28, v34
	v_mul_lo_u32 v34, v28, v34
	v_mul_hi_u32 v39, v28, v33
	v_mul_lo_u32 v33, v28, v33
	v_add_co_u32 v35, vcc_lo, v35, v36
	v_add_co_ci_u32_e32 v36, vcc_lo, 0, v37, vcc_lo
	s_delay_alu instid0(VALU_DEP_2) | instskip(NEXT) | instid1(VALU_DEP_2)
	v_add_co_u32 v34, vcc_lo, v35, v34
	v_add_co_ci_u32_e32 v34, vcc_lo, v36, v38, vcc_lo
	v_add_co_ci_u32_e32 v35, vcc_lo, 0, v39, vcc_lo
	s_delay_alu instid0(VALU_DEP_2) | instskip(NEXT) | instid1(VALU_DEP_2)
	v_add_co_u32 v33, vcc_lo, v34, v33
	v_add_co_ci_u32_e32 v34, vcc_lo, 0, v35, vcc_lo
	s_delay_alu instid0(VALU_DEP_2) | instskip(NEXT) | instid1(VALU_DEP_2)
	v_add_co_u32 v27, vcc_lo, v27, v33
	v_add_co_ci_u32_e32 v28, vcc_lo, v28, v34, vcc_lo
	s_delay_alu instid0(VALU_DEP_2) | instskip(SKIP_1) | instid1(VALU_DEP_3)
	v_mul_hi_u32 v33, s2, v27
	v_mul_lo_u32 v35, s4, v27
	v_mul_lo_u32 v34, s2, v28
	s_delay_alu instid0(VALU_DEP_1) | instskip(SKIP_1) | instid1(VALU_DEP_2)
	v_add_nc_u32_e32 v33, v33, v34
	v_mul_lo_u32 v34, s2, v27
	v_add_nc_u32_e32 v33, v33, v35
	s_delay_alu instid0(VALU_DEP_2) | instskip(NEXT) | instid1(VALU_DEP_2)
	v_mul_hi_u32 v35, v27, v34
	v_mul_lo_u32 v36, v27, v33
	v_mul_hi_u32 v37, v27, v33
	v_mul_hi_u32 v38, v28, v34
	v_mul_lo_u32 v34, v28, v34
	v_mul_hi_u32 v39, v28, v33
	v_mul_lo_u32 v33, v28, v33
	v_add_co_u32 v35, vcc_lo, v35, v36
	v_add_co_ci_u32_e32 v36, vcc_lo, 0, v37, vcc_lo
	s_delay_alu instid0(VALU_DEP_2) | instskip(NEXT) | instid1(VALU_DEP_2)
	v_add_co_u32 v34, vcc_lo, v35, v34
	v_add_co_ci_u32_e32 v34, vcc_lo, v36, v38, vcc_lo
	v_add_co_ci_u32_e32 v35, vcc_lo, 0, v39, vcc_lo
	s_delay_alu instid0(VALU_DEP_2) | instskip(NEXT) | instid1(VALU_DEP_2)
	v_add_co_u32 v33, vcc_lo, v34, v33
	v_add_co_ci_u32_e32 v34, vcc_lo, 0, v35, vcc_lo
	s_delay_alu instid0(VALU_DEP_2) | instskip(NEXT) | instid1(VALU_DEP_2)
	v_add_co_u32 v35, vcc_lo, v27, v33
	v_add_co_ci_u32_e32 v37, vcc_lo, v28, v34, vcc_lo
	s_delay_alu instid0(VALU_DEP_2) | instskip(SKIP_1) | instid1(VALU_DEP_3)
	v_mul_hi_u32 v38, v29, v35
	v_mad_u64_u32 v[33:34], null, v30, v35, 0
	v_mad_u64_u32 v[27:28], null, v29, v37, 0
	;; [unrolled: 1-line block ×3, first 2 shown]
	s_delay_alu instid0(VALU_DEP_2) | instskip(NEXT) | instid1(VALU_DEP_3)
	v_add_co_u32 v27, vcc_lo, v38, v27
	v_add_co_ci_u32_e32 v28, vcc_lo, 0, v28, vcc_lo
	s_delay_alu instid0(VALU_DEP_2) | instskip(NEXT) | instid1(VALU_DEP_2)
	v_add_co_u32 v27, vcc_lo, v27, v33
	v_add_co_ci_u32_e32 v27, vcc_lo, v28, v34, vcc_lo
	v_add_co_ci_u32_e32 v28, vcc_lo, 0, v36, vcc_lo
	s_delay_alu instid0(VALU_DEP_2) | instskip(NEXT) | instid1(VALU_DEP_2)
	v_add_co_u32 v33, vcc_lo, v27, v35
	v_add_co_ci_u32_e32 v34, vcc_lo, 0, v28, vcc_lo
	s_delay_alu instid0(VALU_DEP_2) | instskip(SKIP_1) | instid1(VALU_DEP_3)
	v_mul_lo_u32 v35, s39, v33
	v_mad_u64_u32 v[27:28], null, s38, v33, 0
	v_mul_lo_u32 v36, s38, v34
	s_delay_alu instid0(VALU_DEP_2) | instskip(NEXT) | instid1(VALU_DEP_2)
	v_sub_co_u32 v27, vcc_lo, v29, v27
	v_add3_u32 v28, v28, v36, v35
	s_delay_alu instid0(VALU_DEP_1) | instskip(NEXT) | instid1(VALU_DEP_1)
	v_sub_nc_u32_e32 v35, v30, v28
	v_subrev_co_ci_u32_e64 v29, s2, s39, v35, vcc_lo
	v_add_co_u32 v35, s2, v33, 2
	s_delay_alu instid0(VALU_DEP_1) | instskip(SKIP_3) | instid1(VALU_DEP_3)
	v_add_co_ci_u32_e64 v36, s2, 0, v34, s2
	v_sub_co_u32 v37, s2, v27, s38
	v_sub_co_ci_u32_e32 v28, vcc_lo, v30, v28, vcc_lo
	v_subrev_co_ci_u32_e64 v29, s2, 0, v29, s2
	v_cmp_le_u32_e32 vcc_lo, s38, v37
	s_delay_alu instid0(VALU_DEP_3) | instskip(SKIP_1) | instid1(VALU_DEP_4)
	v_cmp_eq_u32_e64 s2, s39, v28
	v_cndmask_b32_e64 v30, 0, -1, vcc_lo
	v_cmp_le_u32_e32 vcc_lo, s39, v29
	v_cndmask_b32_e64 v37, 0, -1, vcc_lo
	v_cmp_le_u32_e32 vcc_lo, s38, v27
	;; [unrolled: 2-line block ×3, first 2 shown]
	v_cndmask_b32_e64 v38, 0, -1, vcc_lo
	v_cmp_eq_u32_e32 vcc_lo, s39, v29
	s_delay_alu instid0(VALU_DEP_2) | instskip(SKIP_3) | instid1(VALU_DEP_3)
	v_cndmask_b32_e64 v27, v38, v27, s2
	v_cndmask_b32_e32 v29, v37, v30, vcc_lo
	v_add_co_u32 v30, vcc_lo, v33, 1
	v_add_co_ci_u32_e32 v37, vcc_lo, 0, v34, vcc_lo
	v_cmp_ne_u32_e32 vcc_lo, 0, v29
	s_delay_alu instid0(VALU_DEP_2) | instskip(SKIP_1) | instid1(VALU_DEP_2)
	v_dual_cndmask_b32 v28, v37, v36 :: v_dual_cndmask_b32 v29, v30, v35
	v_cmp_ne_u32_e32 vcc_lo, 0, v27
	v_dual_cndmask_b32 v28, v34, v28 :: v_dual_cndmask_b32 v27, v33, v29
                                        ; implicit-def: $vgpr29
.LBB10_213:
	s_and_not1_saveexec_b32 s2, s3
	s_cbranch_execz .LBB10_215
; %bb.214:
	v_cvt_f32_u32_e32 v27, s38
	s_sub_i32 s3, 0, s38
	s_delay_alu instid0(VALU_DEP_1) | instskip(SKIP_2) | instid1(VALU_DEP_1)
	v_rcp_iflag_f32_e32 v27, v27
	s_waitcnt_depctr 0xfff
	v_mul_f32_e32 v27, 0x4f7ffffe, v27
	v_cvt_u32_f32_e32 v27, v27
	s_delay_alu instid0(VALU_DEP_1) | instskip(NEXT) | instid1(VALU_DEP_1)
	v_mul_lo_u32 v28, s3, v27
	v_mul_hi_u32 v28, v27, v28
	s_delay_alu instid0(VALU_DEP_1) | instskip(NEXT) | instid1(VALU_DEP_1)
	v_add_nc_u32_e32 v27, v27, v28
	v_mul_hi_u32 v27, v29, v27
	s_delay_alu instid0(VALU_DEP_1) | instskip(NEXT) | instid1(VALU_DEP_1)
	v_mul_lo_u32 v28, v27, s38
	v_sub_nc_u32_e32 v28, v29, v28
	v_add_nc_u32_e32 v29, 1, v27
	s_delay_alu instid0(VALU_DEP_2) | instskip(SKIP_1) | instid1(VALU_DEP_2)
	v_subrev_nc_u32_e32 v30, s38, v28
	v_cmp_le_u32_e32 vcc_lo, s38, v28
	v_dual_cndmask_b32 v28, v28, v30 :: v_dual_cndmask_b32 v27, v27, v29
	s_delay_alu instid0(VALU_DEP_1) | instskip(NEXT) | instid1(VALU_DEP_2)
	v_cmp_le_u32_e32 vcc_lo, s38, v28
	v_dual_mov_b32 v28, 0 :: v_dual_add_nc_u32 v29, 1, v27
	s_delay_alu instid0(VALU_DEP_1)
	v_cndmask_b32_e32 v27, v27, v29, vcc_lo
.LBB10_215:
	s_or_b32 exec_lo, exec_lo, s2
	v_add_co_u32 v33, vcc_lo, 0xe00, v31
	v_add_co_ci_u32_e32 v34, vcc_lo, 0, v32, vcc_lo
	v_mov_b32_e32 v29, 0
	s_delay_alu instid0(VALU_DEP_2) | instskip(NEXT) | instid1(VALU_DEP_1)
	v_or_b32_e32 v30, s39, v34
	v_cmp_ne_u64_e32 vcc_lo, 0, v[29:30]
                                        ; implicit-def: $vgpr29_vgpr30
	s_and_saveexec_b32 s2, vcc_lo
	s_delay_alu instid0(SALU_CYCLE_1)
	s_xor_b32 s3, exec_lo, s2
	s_cbranch_execz .LBB10_217
; %bb.216:
	v_cvt_f32_u32_e32 v29, s38
	v_cvt_f32_u32_e32 v30, s39
	s_sub_u32 s2, 0, s38
	s_subb_u32 s4, 0, s39
	s_delay_alu instid0(VALU_DEP_1) | instskip(NEXT) | instid1(VALU_DEP_1)
	v_fmamk_f32 v29, v30, 0x4f800000, v29
	v_rcp_f32_e32 v29, v29
	s_waitcnt_depctr 0xfff
	v_mul_f32_e32 v29, 0x5f7ffffc, v29
	s_delay_alu instid0(VALU_DEP_1) | instskip(NEXT) | instid1(VALU_DEP_1)
	v_mul_f32_e32 v30, 0x2f800000, v29
	v_trunc_f32_e32 v30, v30
	s_delay_alu instid0(VALU_DEP_1) | instskip(SKIP_1) | instid1(VALU_DEP_2)
	v_fmamk_f32 v29, v30, 0xcf800000, v29
	v_cvt_u32_f32_e32 v30, v30
	v_cvt_u32_f32_e32 v29, v29
	s_waitcnt lgkmcnt(0)
	s_delay_alu instid0(VALU_DEP_2) | instskip(NEXT) | instid1(VALU_DEP_2)
	v_mul_lo_u32 v35, s2, v30
	v_mul_hi_u32 v36, s2, v29
	v_mul_lo_u32 v37, s4, v29
	s_delay_alu instid0(VALU_DEP_2) | instskip(SKIP_1) | instid1(VALU_DEP_2)
	v_add_nc_u32_e32 v35, v36, v35
	v_mul_lo_u32 v36, s2, v29
	v_add_nc_u32_e32 v35, v35, v37
	s_delay_alu instid0(VALU_DEP_2) | instskip(NEXT) | instid1(VALU_DEP_2)
	v_mul_hi_u32 v37, v29, v36
	v_mul_lo_u32 v38, v29, v35
	v_mul_hi_u32 v39, v29, v35
	v_mul_hi_u32 v40, v30, v36
	v_mul_lo_u32 v36, v30, v36
	v_mul_hi_u32 v41, v30, v35
	v_mul_lo_u32 v35, v30, v35
	v_add_co_u32 v37, vcc_lo, v37, v38
	v_add_co_ci_u32_e32 v38, vcc_lo, 0, v39, vcc_lo
	s_delay_alu instid0(VALU_DEP_2) | instskip(NEXT) | instid1(VALU_DEP_2)
	v_add_co_u32 v36, vcc_lo, v37, v36
	v_add_co_ci_u32_e32 v36, vcc_lo, v38, v40, vcc_lo
	v_add_co_ci_u32_e32 v37, vcc_lo, 0, v41, vcc_lo
	s_delay_alu instid0(VALU_DEP_2) | instskip(NEXT) | instid1(VALU_DEP_2)
	v_add_co_u32 v35, vcc_lo, v36, v35
	v_add_co_ci_u32_e32 v36, vcc_lo, 0, v37, vcc_lo
	s_delay_alu instid0(VALU_DEP_2) | instskip(NEXT) | instid1(VALU_DEP_2)
	v_add_co_u32 v29, vcc_lo, v29, v35
	v_add_co_ci_u32_e32 v30, vcc_lo, v30, v36, vcc_lo
	s_delay_alu instid0(VALU_DEP_2) | instskip(SKIP_1) | instid1(VALU_DEP_3)
	v_mul_hi_u32 v35, s2, v29
	v_mul_lo_u32 v37, s4, v29
	v_mul_lo_u32 v36, s2, v30
	s_delay_alu instid0(VALU_DEP_1) | instskip(SKIP_1) | instid1(VALU_DEP_2)
	v_add_nc_u32_e32 v35, v35, v36
	v_mul_lo_u32 v36, s2, v29
	v_add_nc_u32_e32 v35, v35, v37
	s_delay_alu instid0(VALU_DEP_2) | instskip(NEXT) | instid1(VALU_DEP_2)
	v_mul_hi_u32 v37, v29, v36
	v_mul_lo_u32 v38, v29, v35
	v_mul_hi_u32 v39, v29, v35
	v_mul_hi_u32 v40, v30, v36
	v_mul_lo_u32 v36, v30, v36
	v_mul_hi_u32 v41, v30, v35
	v_mul_lo_u32 v35, v30, v35
	v_add_co_u32 v37, vcc_lo, v37, v38
	v_add_co_ci_u32_e32 v38, vcc_lo, 0, v39, vcc_lo
	s_delay_alu instid0(VALU_DEP_2) | instskip(NEXT) | instid1(VALU_DEP_2)
	v_add_co_u32 v36, vcc_lo, v37, v36
	v_add_co_ci_u32_e32 v36, vcc_lo, v38, v40, vcc_lo
	v_add_co_ci_u32_e32 v37, vcc_lo, 0, v41, vcc_lo
	s_delay_alu instid0(VALU_DEP_2) | instskip(NEXT) | instid1(VALU_DEP_2)
	v_add_co_u32 v35, vcc_lo, v36, v35
	v_add_co_ci_u32_e32 v36, vcc_lo, 0, v37, vcc_lo
	s_delay_alu instid0(VALU_DEP_2) | instskip(NEXT) | instid1(VALU_DEP_2)
	v_add_co_u32 v37, vcc_lo, v29, v35
	v_add_co_ci_u32_e32 v39, vcc_lo, v30, v36, vcc_lo
	s_delay_alu instid0(VALU_DEP_2) | instskip(SKIP_1) | instid1(VALU_DEP_3)
	v_mul_hi_u32 v40, v33, v37
	v_mad_u64_u32 v[35:36], null, v34, v37, 0
	v_mad_u64_u32 v[29:30], null, v33, v39, 0
	;; [unrolled: 1-line block ×3, first 2 shown]
	s_delay_alu instid0(VALU_DEP_2) | instskip(NEXT) | instid1(VALU_DEP_3)
	v_add_co_u32 v29, vcc_lo, v40, v29
	v_add_co_ci_u32_e32 v30, vcc_lo, 0, v30, vcc_lo
	s_delay_alu instid0(VALU_DEP_2) | instskip(NEXT) | instid1(VALU_DEP_2)
	v_add_co_u32 v29, vcc_lo, v29, v35
	v_add_co_ci_u32_e32 v29, vcc_lo, v30, v36, vcc_lo
	v_add_co_ci_u32_e32 v30, vcc_lo, 0, v38, vcc_lo
	s_delay_alu instid0(VALU_DEP_2) | instskip(NEXT) | instid1(VALU_DEP_2)
	v_add_co_u32 v35, vcc_lo, v29, v37
	v_add_co_ci_u32_e32 v36, vcc_lo, 0, v30, vcc_lo
	s_delay_alu instid0(VALU_DEP_2) | instskip(SKIP_1) | instid1(VALU_DEP_3)
	v_mul_lo_u32 v37, s39, v35
	v_mad_u64_u32 v[29:30], null, s38, v35, 0
	v_mul_lo_u32 v38, s38, v36
	s_delay_alu instid0(VALU_DEP_2) | instskip(NEXT) | instid1(VALU_DEP_2)
	v_sub_co_u32 v29, vcc_lo, v33, v29
	v_add3_u32 v30, v30, v38, v37
	s_delay_alu instid0(VALU_DEP_1) | instskip(NEXT) | instid1(VALU_DEP_1)
	v_sub_nc_u32_e32 v37, v34, v30
	v_subrev_co_ci_u32_e64 v33, s2, s39, v37, vcc_lo
	v_add_co_u32 v37, s2, v35, 2
	s_delay_alu instid0(VALU_DEP_1) | instskip(SKIP_3) | instid1(VALU_DEP_3)
	v_add_co_ci_u32_e64 v38, s2, 0, v36, s2
	v_sub_co_u32 v39, s2, v29, s38
	v_sub_co_ci_u32_e32 v30, vcc_lo, v34, v30, vcc_lo
	v_subrev_co_ci_u32_e64 v33, s2, 0, v33, s2
	v_cmp_le_u32_e32 vcc_lo, s38, v39
	s_delay_alu instid0(VALU_DEP_3) | instskip(SKIP_1) | instid1(VALU_DEP_4)
	v_cmp_eq_u32_e64 s2, s39, v30
	v_cndmask_b32_e64 v34, 0, -1, vcc_lo
	v_cmp_le_u32_e32 vcc_lo, s39, v33
	v_cndmask_b32_e64 v39, 0, -1, vcc_lo
	v_cmp_le_u32_e32 vcc_lo, s38, v29
	;; [unrolled: 2-line block ×3, first 2 shown]
	v_cndmask_b32_e64 v40, 0, -1, vcc_lo
	v_cmp_eq_u32_e32 vcc_lo, s39, v33
	s_delay_alu instid0(VALU_DEP_2) | instskip(SKIP_3) | instid1(VALU_DEP_3)
	v_cndmask_b32_e64 v29, v40, v29, s2
	v_cndmask_b32_e32 v33, v39, v34, vcc_lo
	v_add_co_u32 v34, vcc_lo, v35, 1
	v_add_co_ci_u32_e32 v39, vcc_lo, 0, v36, vcc_lo
	v_cmp_ne_u32_e32 vcc_lo, 0, v33
	s_delay_alu instid0(VALU_DEP_2) | instskip(SKIP_1) | instid1(VALU_DEP_2)
	v_dual_cndmask_b32 v30, v39, v38 :: v_dual_cndmask_b32 v33, v34, v37
	v_cmp_ne_u32_e32 vcc_lo, 0, v29
	v_dual_cndmask_b32 v30, v36, v30 :: v_dual_cndmask_b32 v29, v35, v33
                                        ; implicit-def: $vgpr33
.LBB10_217:
	s_and_not1_saveexec_b32 s2, s3
	s_cbranch_execz .LBB10_219
; %bb.218:
	v_cvt_f32_u32_e32 v29, s38
	s_sub_i32 s3, 0, s38
	s_delay_alu instid0(VALU_DEP_1) | instskip(SKIP_2) | instid1(VALU_DEP_1)
	v_rcp_iflag_f32_e32 v29, v29
	s_waitcnt_depctr 0xfff
	v_mul_f32_e32 v29, 0x4f7ffffe, v29
	v_cvt_u32_f32_e32 v29, v29
	s_delay_alu instid0(VALU_DEP_1) | instskip(NEXT) | instid1(VALU_DEP_1)
	v_mul_lo_u32 v30, s3, v29
	v_mul_hi_u32 v30, v29, v30
	s_delay_alu instid0(VALU_DEP_1) | instskip(NEXT) | instid1(VALU_DEP_1)
	v_add_nc_u32_e32 v29, v29, v30
	v_mul_hi_u32 v29, v33, v29
	s_delay_alu instid0(VALU_DEP_1) | instskip(NEXT) | instid1(VALU_DEP_1)
	v_mul_lo_u32 v30, v29, s38
	v_sub_nc_u32_e32 v30, v33, v30
	v_add_nc_u32_e32 v33, 1, v29
	s_delay_alu instid0(VALU_DEP_2) | instskip(SKIP_1) | instid1(VALU_DEP_2)
	v_subrev_nc_u32_e32 v34, s38, v30
	v_cmp_le_u32_e32 vcc_lo, s38, v30
	v_dual_cndmask_b32 v30, v30, v34 :: v_dual_cndmask_b32 v29, v29, v33
	s_delay_alu instid0(VALU_DEP_1) | instskip(NEXT) | instid1(VALU_DEP_2)
	v_cmp_le_u32_e32 vcc_lo, s38, v30
	v_dual_mov_b32 v30, 0 :: v_dual_add_nc_u32 v33, 1, v29
	s_delay_alu instid0(VALU_DEP_1)
	v_cndmask_b32_e32 v29, v29, v33, vcc_lo
.LBB10_219:
	s_or_b32 exec_lo, exec_lo, s2
	v_add_co_u32 v33, vcc_lo, 0xf00, v31
	v_add_co_ci_u32_e32 v34, vcc_lo, 0, v32, vcc_lo
	v_mov_b32_e32 v31, 0
	s_delay_alu instid0(VALU_DEP_2) | instskip(NEXT) | instid1(VALU_DEP_1)
	v_or_b32_e32 v32, s39, v34
	v_cmp_ne_u64_e32 vcc_lo, 0, v[31:32]
                                        ; implicit-def: $vgpr31_vgpr32
	s_and_saveexec_b32 s2, vcc_lo
	s_delay_alu instid0(SALU_CYCLE_1)
	s_xor_b32 s3, exec_lo, s2
	s_cbranch_execz .LBB10_221
; %bb.220:
	v_cvt_f32_u32_e32 v31, s38
	v_cvt_f32_u32_e32 v32, s39
	s_sub_u32 s2, 0, s38
	s_subb_u32 s4, 0, s39
	s_delay_alu instid0(VALU_DEP_1) | instskip(NEXT) | instid1(VALU_DEP_1)
	v_fmamk_f32 v31, v32, 0x4f800000, v31
	v_rcp_f32_e32 v31, v31
	s_waitcnt_depctr 0xfff
	v_mul_f32_e32 v31, 0x5f7ffffc, v31
	s_delay_alu instid0(VALU_DEP_1) | instskip(NEXT) | instid1(VALU_DEP_1)
	v_mul_f32_e32 v32, 0x2f800000, v31
	v_trunc_f32_e32 v32, v32
	s_delay_alu instid0(VALU_DEP_1) | instskip(SKIP_1) | instid1(VALU_DEP_2)
	v_fmamk_f32 v31, v32, 0xcf800000, v31
	v_cvt_u32_f32_e32 v32, v32
	v_cvt_u32_f32_e32 v31, v31
	s_waitcnt lgkmcnt(0)
	s_delay_alu instid0(VALU_DEP_2) | instskip(NEXT) | instid1(VALU_DEP_2)
	v_mul_lo_u32 v35, s2, v32
	v_mul_hi_u32 v36, s2, v31
	v_mul_lo_u32 v37, s4, v31
	s_delay_alu instid0(VALU_DEP_2) | instskip(SKIP_1) | instid1(VALU_DEP_2)
	v_add_nc_u32_e32 v35, v36, v35
	v_mul_lo_u32 v36, s2, v31
	v_add_nc_u32_e32 v35, v35, v37
	s_delay_alu instid0(VALU_DEP_2) | instskip(NEXT) | instid1(VALU_DEP_2)
	v_mul_hi_u32 v37, v31, v36
	v_mul_lo_u32 v38, v31, v35
	v_mul_hi_u32 v39, v31, v35
	v_mul_hi_u32 v40, v32, v36
	v_mul_lo_u32 v36, v32, v36
	v_mul_hi_u32 v41, v32, v35
	v_mul_lo_u32 v35, v32, v35
	v_add_co_u32 v37, vcc_lo, v37, v38
	v_add_co_ci_u32_e32 v38, vcc_lo, 0, v39, vcc_lo
	s_delay_alu instid0(VALU_DEP_2) | instskip(NEXT) | instid1(VALU_DEP_2)
	v_add_co_u32 v36, vcc_lo, v37, v36
	v_add_co_ci_u32_e32 v36, vcc_lo, v38, v40, vcc_lo
	v_add_co_ci_u32_e32 v37, vcc_lo, 0, v41, vcc_lo
	s_delay_alu instid0(VALU_DEP_2) | instskip(NEXT) | instid1(VALU_DEP_2)
	v_add_co_u32 v35, vcc_lo, v36, v35
	v_add_co_ci_u32_e32 v36, vcc_lo, 0, v37, vcc_lo
	s_delay_alu instid0(VALU_DEP_2) | instskip(NEXT) | instid1(VALU_DEP_2)
	v_add_co_u32 v31, vcc_lo, v31, v35
	v_add_co_ci_u32_e32 v32, vcc_lo, v32, v36, vcc_lo
	s_delay_alu instid0(VALU_DEP_2) | instskip(SKIP_1) | instid1(VALU_DEP_3)
	v_mul_hi_u32 v35, s2, v31
	v_mul_lo_u32 v37, s4, v31
	v_mul_lo_u32 v36, s2, v32
	s_delay_alu instid0(VALU_DEP_1) | instskip(SKIP_1) | instid1(VALU_DEP_2)
	v_add_nc_u32_e32 v35, v35, v36
	v_mul_lo_u32 v36, s2, v31
	v_add_nc_u32_e32 v35, v35, v37
	s_delay_alu instid0(VALU_DEP_2) | instskip(NEXT) | instid1(VALU_DEP_2)
	v_mul_hi_u32 v37, v31, v36
	v_mul_lo_u32 v38, v31, v35
	v_mul_hi_u32 v39, v31, v35
	v_mul_hi_u32 v40, v32, v36
	v_mul_lo_u32 v36, v32, v36
	v_mul_hi_u32 v41, v32, v35
	v_mul_lo_u32 v35, v32, v35
	v_add_co_u32 v37, vcc_lo, v37, v38
	v_add_co_ci_u32_e32 v38, vcc_lo, 0, v39, vcc_lo
	s_delay_alu instid0(VALU_DEP_2) | instskip(NEXT) | instid1(VALU_DEP_2)
	v_add_co_u32 v36, vcc_lo, v37, v36
	v_add_co_ci_u32_e32 v36, vcc_lo, v38, v40, vcc_lo
	v_add_co_ci_u32_e32 v37, vcc_lo, 0, v41, vcc_lo
	s_delay_alu instid0(VALU_DEP_2) | instskip(NEXT) | instid1(VALU_DEP_2)
	v_add_co_u32 v35, vcc_lo, v36, v35
	v_add_co_ci_u32_e32 v36, vcc_lo, 0, v37, vcc_lo
	s_delay_alu instid0(VALU_DEP_2) | instskip(NEXT) | instid1(VALU_DEP_2)
	v_add_co_u32 v37, vcc_lo, v31, v35
	v_add_co_ci_u32_e32 v39, vcc_lo, v32, v36, vcc_lo
	s_delay_alu instid0(VALU_DEP_2) | instskip(SKIP_1) | instid1(VALU_DEP_3)
	v_mul_hi_u32 v40, v33, v37
	v_mad_u64_u32 v[35:36], null, v34, v37, 0
	v_mad_u64_u32 v[31:32], null, v33, v39, 0
	;; [unrolled: 1-line block ×3, first 2 shown]
	s_delay_alu instid0(VALU_DEP_2) | instskip(NEXT) | instid1(VALU_DEP_3)
	v_add_co_u32 v31, vcc_lo, v40, v31
	v_add_co_ci_u32_e32 v32, vcc_lo, 0, v32, vcc_lo
	s_delay_alu instid0(VALU_DEP_2) | instskip(NEXT) | instid1(VALU_DEP_2)
	v_add_co_u32 v31, vcc_lo, v31, v35
	v_add_co_ci_u32_e32 v31, vcc_lo, v32, v36, vcc_lo
	v_add_co_ci_u32_e32 v32, vcc_lo, 0, v38, vcc_lo
	s_delay_alu instid0(VALU_DEP_2) | instskip(NEXT) | instid1(VALU_DEP_2)
	v_add_co_u32 v35, vcc_lo, v31, v37
	v_add_co_ci_u32_e32 v36, vcc_lo, 0, v32, vcc_lo
	s_delay_alu instid0(VALU_DEP_2) | instskip(SKIP_1) | instid1(VALU_DEP_3)
	v_mul_lo_u32 v37, s39, v35
	v_mad_u64_u32 v[31:32], null, s38, v35, 0
	v_mul_lo_u32 v38, s38, v36
	s_delay_alu instid0(VALU_DEP_2) | instskip(NEXT) | instid1(VALU_DEP_2)
	v_sub_co_u32 v31, vcc_lo, v33, v31
	v_add3_u32 v32, v32, v38, v37
	s_delay_alu instid0(VALU_DEP_1) | instskip(NEXT) | instid1(VALU_DEP_1)
	v_sub_nc_u32_e32 v37, v34, v32
	v_subrev_co_ci_u32_e64 v33, s2, s39, v37, vcc_lo
	v_add_co_u32 v37, s2, v35, 2
	s_delay_alu instid0(VALU_DEP_1) | instskip(SKIP_3) | instid1(VALU_DEP_3)
	v_add_co_ci_u32_e64 v38, s2, 0, v36, s2
	v_sub_co_u32 v39, s2, v31, s38
	v_sub_co_ci_u32_e32 v32, vcc_lo, v34, v32, vcc_lo
	v_subrev_co_ci_u32_e64 v33, s2, 0, v33, s2
	v_cmp_le_u32_e32 vcc_lo, s38, v39
	s_delay_alu instid0(VALU_DEP_3) | instskip(SKIP_1) | instid1(VALU_DEP_4)
	v_cmp_eq_u32_e64 s2, s39, v32
	v_cndmask_b32_e64 v34, 0, -1, vcc_lo
	v_cmp_le_u32_e32 vcc_lo, s39, v33
	v_cndmask_b32_e64 v39, 0, -1, vcc_lo
	v_cmp_le_u32_e32 vcc_lo, s38, v31
	;; [unrolled: 2-line block ×3, first 2 shown]
	v_cndmask_b32_e64 v40, 0, -1, vcc_lo
	v_cmp_eq_u32_e32 vcc_lo, s39, v33
	s_delay_alu instid0(VALU_DEP_2) | instskip(SKIP_3) | instid1(VALU_DEP_3)
	v_cndmask_b32_e64 v31, v40, v31, s2
	v_cndmask_b32_e32 v33, v39, v34, vcc_lo
	v_add_co_u32 v34, vcc_lo, v35, 1
	v_add_co_ci_u32_e32 v39, vcc_lo, 0, v36, vcc_lo
	v_cmp_ne_u32_e32 vcc_lo, 0, v33
	s_delay_alu instid0(VALU_DEP_2) | instskip(SKIP_1) | instid1(VALU_DEP_2)
	v_dual_cndmask_b32 v32, v39, v38 :: v_dual_cndmask_b32 v33, v34, v37
	v_cmp_ne_u32_e32 vcc_lo, 0, v31
	v_dual_cndmask_b32 v32, v36, v32 :: v_dual_cndmask_b32 v31, v35, v33
                                        ; implicit-def: $vgpr33
.LBB10_221:
	s_and_not1_saveexec_b32 s2, s3
	s_cbranch_execz .LBB10_223
; %bb.222:
	v_cvt_f32_u32_e32 v31, s38
	s_sub_i32 s3, 0, s38
	s_delay_alu instid0(VALU_DEP_1) | instskip(SKIP_2) | instid1(VALU_DEP_1)
	v_rcp_iflag_f32_e32 v31, v31
	s_waitcnt_depctr 0xfff
	v_mul_f32_e32 v31, 0x4f7ffffe, v31
	v_cvt_u32_f32_e32 v31, v31
	s_delay_alu instid0(VALU_DEP_1) | instskip(NEXT) | instid1(VALU_DEP_1)
	v_mul_lo_u32 v32, s3, v31
	v_mul_hi_u32 v32, v31, v32
	s_delay_alu instid0(VALU_DEP_1) | instskip(NEXT) | instid1(VALU_DEP_1)
	v_add_nc_u32_e32 v31, v31, v32
	v_mul_hi_u32 v31, v33, v31
	s_delay_alu instid0(VALU_DEP_1) | instskip(NEXT) | instid1(VALU_DEP_1)
	v_mul_lo_u32 v32, v31, s38
	v_sub_nc_u32_e32 v32, v33, v32
	v_add_nc_u32_e32 v33, 1, v31
	s_delay_alu instid0(VALU_DEP_2) | instskip(SKIP_1) | instid1(VALU_DEP_2)
	v_subrev_nc_u32_e32 v34, s38, v32
	v_cmp_le_u32_e32 vcc_lo, s38, v32
	v_dual_cndmask_b32 v32, v32, v34 :: v_dual_cndmask_b32 v31, v31, v33
	s_delay_alu instid0(VALU_DEP_1) | instskip(NEXT) | instid1(VALU_DEP_2)
	v_cmp_le_u32_e32 vcc_lo, s38, v32
	v_dual_mov_b32 v32, 0 :: v_dual_add_nc_u32 v33, 1, v31
	s_delay_alu instid0(VALU_DEP_1)
	v_cndmask_b32_e32 v31, v31, v33, vcc_lo
.LBB10_223:
	s_or_b32 exec_lo, exec_lo, s2
	v_or_b32_e32 v33, 0x100, v0
	v_lshrrev_b32_e32 v34, 5, v0
	v_or_b32_e32 v36, 0x200, v0
	v_or_b32_e32 v37, 0x300, v0
	;; [unrolled: 1-line block ×3, first 2 shown]
	v_lshrrev_b32_e32 v33, 5, v33
	s_waitcnt lgkmcnt(0)
	v_add_nc_u32_e32 v35, v34, v0
	v_lshrrev_b32_e32 v34, 5, v36
	v_or_b32_e32 v39, 0x500, v0
	v_or_b32_e32 v41, 0x600, v0
	v_add_nc_u32_e32 v36, v33, v0
	v_lshrrev_b32_e32 v33, 5, v37
	v_lshrrev_b32_e32 v37, 5, v38
	v_lshlrev_b32_e32 v42, 3, v35
	v_add_nc_u32_e32 v40, v34, v0
	v_lshlrev_b32_e32 v43, 3, v36
	v_add_nc_u32_e32 v38, v33, v0
	v_add_nc_u32_e32 v37, v37, v0
	v_lshrrev_b32_e32 v39, 5, v39
	ds_store_b64 v42, v[1:2]
	ds_store_b64 v43, v[3:4] offset:2048
	v_lshlrev_b32_e32 v1, 3, v40
	v_lshrrev_b32_e32 v4, 5, v41
	v_lshlrev_b32_e32 v2, 3, v38
	v_lshlrev_b32_e32 v3, 3, v37
	v_add_nc_u32_e32 v39, v39, v0
	ds_store_b64 v1, v[5:6] offset:4096
	ds_store_b64 v2, v[7:8] offset:6144
	;; [unrolled: 1-line block ×3, first 2 shown]
	v_add_nc_u32_e32 v41, v4, v0
	v_or_b32_e32 v1, 0x700, v0
	v_lshlrev_b32_e32 v33, 3, v39
	v_or_b32_e32 v5, 0xa00, v0
	v_or_b32_e32 v2, 0x800, v0
	v_lshlrev_b32_e32 v4, 3, v41
	v_lshrrev_b32_e32 v1, 5, v1
	v_or_b32_e32 v3, 0x900, v0
	ds_store_b64 v33, v[11:12] offset:10240
	v_lshrrev_b32_e32 v2, 5, v2
	ds_store_b64 v4, v[13:14] offset:12288
	v_lshrrev_b32_e32 v4, 5, v5
	v_add_nc_u32_e32 v44, v1, v0
	v_or_b32_e32 v1, 0xb00, v0
	v_lshrrev_b32_e32 v3, 5, v3
	v_add_nc_u32_e32 v43, v2, v0
	v_add_nc_u32_e32 v45, v4, v0
	v_lshlrev_b32_e32 v2, 3, v44
	v_lshrrev_b32_e32 v1, 5, v1
	v_add_nc_u32_e32 v42, v3, v0
	v_lshlrev_b32_e32 v3, 3, v43
	v_lshlrev_b32_e32 v5, 3, v45
	s_cmp_eq_u64 s[40:41], 0
	v_add_nc_u32_e32 v46, v1, v0
	v_or_b32_e32 v1, 0xc00, v0
	v_lshlrev_b32_e32 v4, 3, v42
	ds_store_b64 v2, v[15:16] offset:14336
	ds_store_b64 v3, v[17:18] offset:16384
	;; [unrolled: 1-line block ×4, first 2 shown]
	v_lshlrev_b32_e32 v4, 3, v46
	v_or_b32_e32 v5, 0xf00, v0
	v_lshrrev_b32_e32 v1, 5, v1
	v_or_b32_e32 v2, 0xd00, v0
	v_or_b32_e32 v3, 0xe00, v0
	ds_store_b64 v4, v[23:24] offset:22528
	v_lshrrev_b32_e32 v4, 5, v5
	v_add_nc_u32_e32 v49, v1, v0
	v_lshrrev_b32_e32 v1, 1, v0
	v_lshrrev_b32_e32 v2, 5, v2
	;; [unrolled: 1-line block ×3, first 2 shown]
	v_add_nc_u32_e32 v51, v4, v0
	s_delay_alu instid0(VALU_DEP_4) | instskip(NEXT) | instid1(VALU_DEP_4)
	v_lshl_add_u32 v50, v0, 4, v1
	v_add_nc_u32_e32 v48, v2, v0
	s_delay_alu instid0(VALU_DEP_4)
	v_add_nc_u32_e32 v47, v3, v0
	v_lshlrev_b32_e32 v2, 3, v49
	v_lshlrev_b32_e32 v1, 3, v51
	;; [unrolled: 1-line block ×5, first 2 shown]
	ds_store_b64 v2, v[25:26] offset:24576
	ds_store_b64 v3, v[27:28] offset:26624
	;; [unrolled: 1-line block ×4, first 2 shown]
	s_waitcnt lgkmcnt(0)
	s_barrier
	buffer_gl0_inv
	ds_load_2addr_b64 v[29:32], v5 offset1:1
	ds_load_2addr_b64 v[25:28], v5 offset0:2 offset1:3
	ds_load_2addr_b64 v[21:24], v5 offset0:4 offset1:5
	;; [unrolled: 1-line block ×7, first 2 shown]
	s_cbranch_scc1 .LBB10_241
; %bb.224:
	s_and_not1_b32 vcc_lo, exec_lo, s48
	s_cbranch_vccnz .LBB10_242
; %bb.225:
	s_lshl_b64 s[2:3], s[40:41], 3
	s_delay_alu instid0(SALU_CYCLE_1)
	s_add_u32 s2, s26, s2
	s_addc_u32 s3, s27, s3
	s_add_u32 s2, s2, -8
	s_addc_u32 s3, s3, -1
	s_load_b64 s[2:3], s[2:3], 0x0
	s_waitcnt lgkmcnt(0)
	v_dual_mov_b32 v34, s3 :: v_dual_mov_b32 v33, s2
	s_cbranch_execz .LBB10_243
	s_branch .LBB10_246
.LBB10_226:
	v_lshlrev_b32_e32 v63, 2, v0
	s_delay_alu instid0(VALU_DEP_1) | instskip(NEXT) | instid1(VALU_DEP_1)
	v_add_co_u32 v63, s2, s31, v63
	v_add_co_ci_u32_e64 v64, null, s33, 0, s2
	flat_load_b32 v63, v[63:64]
	s_or_b32 exec_lo, exec_lo, s19
                                        ; implicit-def: $vgpr64
	s_and_saveexec_b32 s2, s3
	s_cbranch_execz .LBB10_113
.LBB10_227:
	v_lshlrev_b32_e32 v64, 2, v0
	s_delay_alu instid0(VALU_DEP_1) | instskip(NEXT) | instid1(VALU_DEP_1)
	v_add_co_u32 v68, s3, s31, v64
	v_add_co_ci_u32_e64 v69, null, s33, 0, s3
	flat_load_b32 v64, v[68:69] offset:1024
	s_or_b32 exec_lo, exec_lo, s2
                                        ; implicit-def: $vgpr66
	s_and_saveexec_b32 s2, s4
	s_cbranch_execz .LBB10_114
.LBB10_228:
	v_lshlrev_b32_e32 v66, 2, v0
	s_delay_alu instid0(VALU_DEP_1) | instskip(NEXT) | instid1(VALU_DEP_1)
	v_add_co_u32 v68, s3, s31, v66
	v_add_co_ci_u32_e64 v69, null, s33, 0, s3
	flat_load_b32 v66, v[68:69] offset:2048
	s_or_b32 exec_lo, exec_lo, s2
                                        ; implicit-def: $vgpr68
	s_and_saveexec_b32 s2, s5
	s_cbranch_execz .LBB10_115
.LBB10_229:
	v_lshlrev_b32_e32 v68, 2, v0
	s_delay_alu instid0(VALU_DEP_1) | instskip(NEXT) | instid1(VALU_DEP_1)
	v_add_co_u32 v68, s3, s31, v68
	v_add_co_ci_u32_e64 v69, null, s33, 0, s3
	flat_load_b32 v68, v[68:69] offset:3072
	s_or_b32 exec_lo, exec_lo, s2
                                        ; implicit-def: $vgpr69
	s_and_saveexec_b32 s2, s6
	s_cbranch_execz .LBB10_116
.LBB10_230:
	v_lshlrev_b32_e32 v36, 2, v36
	s_delay_alu instid0(VALU_DEP_1) | instskip(NEXT) | instid1(VALU_DEP_1)
	v_add_co_u32 v69, s3, s31, v36
	v_add_co_ci_u32_e64 v70, null, s33, 0, s3
	flat_load_b32 v69, v[69:70]
	s_or_b32 exec_lo, exec_lo, s2
                                        ; implicit-def: $vgpr36
	s_and_saveexec_b32 s2, s7
	s_cbranch_execz .LBB10_117
.LBB10_231:
	v_lshlrev_b32_e32 v36, 2, v38
	s_delay_alu instid0(VALU_DEP_1) | instskip(NEXT) | instid1(VALU_DEP_1)
	v_add_co_u32 v70, s3, s31, v36
	v_add_co_ci_u32_e64 v71, null, s33, 0, s3
	flat_load_b32 v36, v[70:71]
	s_or_b32 exec_lo, exec_lo, s2
                                        ; implicit-def: $vgpr38
	s_and_saveexec_b32 s2, s8
	s_cbranch_execz .LBB10_118
.LBB10_232:
	v_lshlrev_b32_e32 v38, 2, v40
	s_delay_alu instid0(VALU_DEP_1) | instskip(NEXT) | instid1(VALU_DEP_1)
	v_add_co_u32 v70, s3, s31, v38
	v_add_co_ci_u32_e64 v71, null, s33, 0, s3
	flat_load_b32 v38, v[70:71]
	s_or_b32 exec_lo, exec_lo, s2
                                        ; implicit-def: $vgpr40
	s_and_saveexec_b32 s2, s9
	s_cbranch_execz .LBB10_119
.LBB10_233:
	v_lshlrev_b32_e32 v40, 2, v41
	s_delay_alu instid0(VALU_DEP_1) | instskip(NEXT) | instid1(VALU_DEP_1)
	v_add_co_u32 v40, s3, s31, v40
	v_add_co_ci_u32_e64 v41, null, s33, 0, s3
	flat_load_b32 v40, v[40:41]
	s_or_b32 exec_lo, exec_lo, s2
                                        ; implicit-def: $vgpr41
	s_and_saveexec_b32 s2, s10
	s_cbranch_execz .LBB10_120
.LBB10_234:
	v_lshlrev_b32_e32 v41, 2, v42
	s_delay_alu instid0(VALU_DEP_1) | instskip(NEXT) | instid1(VALU_DEP_1)
	v_add_co_u32 v41, s3, s31, v41
	v_add_co_ci_u32_e64 v42, null, s33, 0, s3
	flat_load_b32 v41, v[41:42]
	s_or_b32 exec_lo, exec_lo, s2
                                        ; implicit-def: $vgpr42
	s_and_saveexec_b32 s2, s11
	s_cbranch_execz .LBB10_121
.LBB10_235:
	v_lshlrev_b32_e32 v42, 2, v43
	s_delay_alu instid0(VALU_DEP_1) | instskip(NEXT) | instid1(VALU_DEP_1)
	v_add_co_u32 v42, s3, s31, v42
	v_add_co_ci_u32_e64 v43, null, s33, 0, s3
	flat_load_b32 v42, v[42:43]
	s_or_b32 exec_lo, exec_lo, s2
                                        ; implicit-def: $vgpr43
	s_and_saveexec_b32 s2, s12
	s_cbranch_execz .LBB10_122
.LBB10_236:
	v_lshlrev_b32_e32 v43, 2, v44
	s_delay_alu instid0(VALU_DEP_1) | instskip(NEXT) | instid1(VALU_DEP_1)
	v_add_co_u32 v43, s3, s31, v43
	v_add_co_ci_u32_e64 v44, null, s33, 0, s3
	flat_load_b32 v43, v[43:44]
	s_or_b32 exec_lo, exec_lo, s2
                                        ; implicit-def: $vgpr44
	s_and_saveexec_b32 s2, s13
	s_cbranch_execz .LBB10_123
.LBB10_237:
	v_lshlrev_b32_e32 v44, 2, v45
	s_delay_alu instid0(VALU_DEP_1) | instskip(NEXT) | instid1(VALU_DEP_1)
	v_add_co_u32 v44, s3, s31, v44
	v_add_co_ci_u32_e64 v45, null, s33, 0, s3
	flat_load_b32 v44, v[44:45]
	s_or_b32 exec_lo, exec_lo, s2
                                        ; implicit-def: $vgpr45
	s_and_saveexec_b32 s2, s14
	s_cbranch_execz .LBB10_124
.LBB10_238:
	v_lshlrev_b32_e32 v45, 2, v46
	s_delay_alu instid0(VALU_DEP_1) | instskip(NEXT) | instid1(VALU_DEP_1)
	v_add_co_u32 v45, s3, s31, v45
	v_add_co_ci_u32_e64 v46, null, s33, 0, s3
	flat_load_b32 v45, v[45:46]
	s_or_b32 exec_lo, exec_lo, s2
                                        ; implicit-def: $vgpr46
	s_and_saveexec_b32 s2, s16
	s_cbranch_execz .LBB10_125
.LBB10_239:
	v_lshlrev_b32_e32 v46, 2, v47
	s_delay_alu instid0(VALU_DEP_1) | instskip(NEXT) | instid1(VALU_DEP_1)
	v_add_co_u32 v46, s3, s31, v46
	v_add_co_ci_u32_e64 v47, null, s33, 0, s3
	flat_load_b32 v46, v[46:47]
	s_or_b32 exec_lo, exec_lo, s2
                                        ; implicit-def: $vgpr47
	s_and_saveexec_b32 s2, s17
	s_cbranch_execz .LBB10_126
.LBB10_240:
	v_lshlrev_b32_e32 v47, 2, v48
	s_delay_alu instid0(VALU_DEP_1) | instskip(NEXT) | instid1(VALU_DEP_1)
	v_add_co_u32 v47, s3, s31, v47
	v_add_co_ci_u32_e64 v48, null, s33, 0, s3
	flat_load_b32 v47, v[47:48]
	s_or_b32 exec_lo, exec_lo, s2
                                        ; implicit-def: $vgpr48
	s_and_saveexec_b32 s2, s18
	s_cbranch_execnz .LBB10_127
	s_branch .LBB10_128
.LBB10_241:
                                        ; implicit-def: $vgpr33_vgpr34
	s_branch .LBB10_247
.LBB10_242:
                                        ; implicit-def: $sgpr2_sgpr3
	v_dual_mov_b32 v34, s3 :: v_dual_mov_b32 v33, s2
.LBB10_243:
	s_add_u32 s4, s36, -1
	s_addc_u32 s5, s37, -1
	s_delay_alu instid0(SALU_CYCLE_1) | instskip(SKIP_1) | instid1(SALU_CYCLE_1)
	s_or_b64 s[6:7], s[4:5], s[38:39]
	s_mov_b32 s6, 0
	s_cmp_lg_u64 s[6:7], 0
	s_cbranch_scc0 .LBB10_346
; %bb.244:
	v_cvt_f32_u32_e32 v33, s38
	v_cvt_f32_u32_e32 v34, s39
	s_sub_u32 s7, 0, s38
	s_subb_u32 s8, 0, s39
	s_delay_alu instid0(VALU_DEP_1) | instskip(NEXT) | instid1(VALU_DEP_1)
	v_fmamk_f32 v33, v34, 0x4f800000, v33
	v_rcp_f32_e32 v33, v33
	s_waitcnt_depctr 0xfff
	v_mul_f32_e32 v33, 0x5f7ffffc, v33
	s_delay_alu instid0(VALU_DEP_1) | instskip(NEXT) | instid1(VALU_DEP_1)
	v_mul_f32_e32 v34, 0x2f800000, v33
	v_trunc_f32_e32 v34, v34
	s_delay_alu instid0(VALU_DEP_1) | instskip(SKIP_1) | instid1(VALU_DEP_2)
	v_fmamk_f32 v33, v34, 0xcf800000, v33
	v_cvt_u32_f32_e32 v34, v34
	v_cvt_u32_f32_e32 v33, v33
	s_delay_alu instid0(VALU_DEP_2) | instskip(NEXT) | instid1(VALU_DEP_2)
	v_readfirstlane_b32 s2, v34
	v_readfirstlane_b32 s3, v33
	s_delay_alu instid0(VALU_DEP_2) | instskip(NEXT) | instid1(VALU_DEP_1)
	s_mul_i32 s9, s7, s2
	s_mul_hi_u32 s11, s7, s3
	s_mul_i32 s10, s8, s3
	s_add_i32 s9, s11, s9
	s_mul_i32 s12, s7, s3
	s_add_i32 s9, s9, s10
	s_mul_hi_u32 s11, s3, s12
	s_mul_hi_u32 s13, s2, s12
	s_mul_i32 s10, s2, s12
	s_mul_hi_u32 s12, s3, s9
	s_mul_i32 s3, s3, s9
	s_mul_hi_u32 s14, s2, s9
	s_add_u32 s3, s11, s3
	s_addc_u32 s11, 0, s12
	s_add_u32 s3, s3, s10
	s_mul_i32 s9, s2, s9
	s_addc_u32 s3, s11, s13
	s_addc_u32 s10, s14, 0
	s_add_u32 s3, s3, s9
	s_addc_u32 s9, 0, s10
	v_add_co_u32 v33, s3, v33, s3
	s_delay_alu instid0(VALU_DEP_1) | instskip(SKIP_1) | instid1(VALU_DEP_1)
	s_cmp_lg_u32 s3, 0
	s_addc_u32 s2, s2, s9
	v_readfirstlane_b32 s3, v33
	s_mul_i32 s9, s7, s2
	s_delay_alu instid0(VALU_DEP_1)
	s_mul_hi_u32 s10, s7, s3
	s_mul_i32 s8, s8, s3
	s_add_i32 s9, s10, s9
	s_mul_i32 s7, s7, s3
	s_add_i32 s9, s9, s8
	s_mul_hi_u32 s10, s2, s7
	s_mul_i32 s11, s2, s7
	s_mul_hi_u32 s7, s3, s7
	s_mul_hi_u32 s12, s3, s9
	s_mul_i32 s3, s3, s9
	s_mul_hi_u32 s8, s2, s9
	s_add_u32 s3, s7, s3
	s_addc_u32 s7, 0, s12
	s_add_u32 s3, s3, s11
	s_mul_i32 s9, s2, s9
	s_addc_u32 s3, s7, s10
	s_addc_u32 s7, s8, 0
	s_add_u32 s3, s3, s9
	s_addc_u32 s7, 0, s7
	v_add_co_u32 v33, s3, v33, s3
	s_delay_alu instid0(VALU_DEP_1) | instskip(SKIP_1) | instid1(VALU_DEP_1)
	s_cmp_lg_u32 s3, 0
	s_addc_u32 s2, s2, s7
	v_readfirstlane_b32 s3, v33
	s_mul_i32 s8, s4, s2
	s_mul_hi_u32 s7, s4, s2
	s_mul_hi_u32 s9, s5, s2
	s_mul_i32 s2, s5, s2
	s_mul_hi_u32 s10, s4, s3
	s_mul_hi_u32 s11, s5, s3
	s_mul_i32 s3, s5, s3
	s_add_u32 s8, s10, s8
	s_addc_u32 s7, 0, s7
	s_add_u32 s3, s8, s3
	s_addc_u32 s3, s7, s11
	s_addc_u32 s7, s9, 0
	s_add_u32 s3, s3, s2
	s_addc_u32 s7, 0, s7
	s_mul_hi_u32 s2, s38, s3
	s_mul_i32 s9, s38, s7
	s_mul_i32 s10, s38, s3
	s_add_i32 s2, s2, s9
	v_sub_co_u32 v33, s9, s4, s10
	s_mul_i32 s8, s39, s3
	s_delay_alu instid0(SALU_CYCLE_1) | instskip(NEXT) | instid1(VALU_DEP_1)
	s_add_i32 s2, s2, s8
	v_sub_co_u32 v34, s10, v33, s38
	s_sub_i32 s8, s5, s2
	s_cmp_lg_u32 s9, 0
	s_subb_u32 s8, s8, s39
	s_cmp_lg_u32 s10, 0
	v_cmp_le_u32_e32 vcc_lo, s38, v34
	s_subb_u32 s8, s8, 0
	s_delay_alu instid0(SALU_CYCLE_1)
	s_cmp_ge_u32 s8, s39
	v_cndmask_b32_e64 v34, 0, -1, vcc_lo
	s_cselect_b32 s10, -1, 0
	s_cmp_eq_u32 s8, s39
	s_cselect_b32 vcc_lo, -1, 0
	s_add_u32 s8, s3, 1
	v_cndmask_b32_e32 v34, s10, v34, vcc_lo
	s_addc_u32 s10, s7, 0
	s_add_u32 s11, s3, 2
	s_addc_u32 s12, s7, 0
	s_cmp_lg_u32 s9, 0
	v_cmp_le_u32_e32 vcc_lo, s38, v33
	s_subb_u32 s2, s5, s2
	v_mov_b32_e32 v52, s11
	s_cmp_ge_u32 s2, s39
	v_cndmask_b32_e64 v33, 0, -1, vcc_lo
	s_cselect_b32 s5, -1, 0
	s_cmp_eq_u32 s2, s39
	v_cmp_ne_u32_e32 vcc_lo, 0, v34
	v_mov_b32_e32 v34, s12
	s_cselect_b32 s2, -1, 0
	s_delay_alu instid0(SALU_CYCLE_1) | instskip(SKIP_1) | instid1(VALU_DEP_3)
	v_cndmask_b32_e64 v33, s5, v33, s2
	v_cndmask_b32_e32 v52, s8, v52, vcc_lo
	v_cndmask_b32_e32 v34, s10, v34, vcc_lo
	s_delay_alu instid0(VALU_DEP_3) | instskip(NEXT) | instid1(VALU_DEP_2)
	v_cmp_ne_u32_e32 vcc_lo, 0, v33
	v_cndmask_b32_e32 v34, s7, v34, vcc_lo
	s_delay_alu instid0(VALU_DEP_4)
	v_cndmask_b32_e32 v33, s3, v52, vcc_lo
	s_and_not1_b32 vcc_lo, exec_lo, s6
	s_cbranch_vccnz .LBB10_246
.LBB10_245:
	v_cvt_f32_u32_e32 v33, s38
	s_sub_i32 s3, 0, s38
	s_delay_alu instid0(VALU_DEP_1) | instskip(SKIP_2) | instid1(VALU_DEP_1)
	v_rcp_iflag_f32_e32 v33, v33
	s_waitcnt_depctr 0xfff
	v_mul_f32_e32 v33, 0x4f7ffffe, v33
	v_cvt_u32_f32_e32 v33, v33
	s_delay_alu instid0(VALU_DEP_1) | instskip(NEXT) | instid1(VALU_DEP_1)
	v_readfirstlane_b32 s2, v33
	s_mul_i32 s3, s3, s2
	s_delay_alu instid0(SALU_CYCLE_1) | instskip(NEXT) | instid1(SALU_CYCLE_1)
	s_mul_hi_u32 s3, s2, s3
	s_add_i32 s2, s2, s3
	s_delay_alu instid0(SALU_CYCLE_1) | instskip(NEXT) | instid1(SALU_CYCLE_1)
	s_mul_hi_u32 s2, s4, s2
	s_mul_i32 s3, s2, s38
	s_delay_alu instid0(SALU_CYCLE_1)
	s_sub_i32 s3, s4, s3
	s_add_i32 s4, s2, 1
	s_sub_i32 s5, s3, s38
	s_cmp_ge_u32 s3, s38
	s_cselect_b32 s2, s4, s2
	s_cselect_b32 s3, s5, s3
	s_add_i32 s4, s2, 1
	s_cmp_ge_u32 s3, s38
	s_mov_b32 s3, 0
	s_cselect_b32 s2, s4, s2
	s_delay_alu instid0(SALU_CYCLE_1)
	v_dual_mov_b32 v34, s3 :: v_dual_mov_b32 v33, s2
.LBB10_246:
	s_cbranch_execnz .LBB10_250
.LBB10_247:
	s_or_b64 s[4:5], s[36:37], s[38:39]
	s_mov_b32 s4, 0
	s_delay_alu instid0(SALU_CYCLE_1)
	s_cmp_lg_u64 s[4:5], 0
	s_cbranch_scc0 .LBB10_344
; %bb.248:
	v_cvt_f32_u32_e32 v33, s38
	v_cvt_f32_u32_e32 v34, s39
	s_sub_u32 s5, 0, s38
	s_subb_u32 s6, 0, s39
	s_delay_alu instid0(VALU_DEP_1) | instskip(NEXT) | instid1(VALU_DEP_1)
	v_fmamk_f32 v33, v34, 0x4f800000, v33
	v_rcp_f32_e32 v33, v33
	s_waitcnt_depctr 0xfff
	v_mul_f32_e32 v33, 0x5f7ffffc, v33
	s_delay_alu instid0(VALU_DEP_1) | instskip(NEXT) | instid1(VALU_DEP_1)
	v_mul_f32_e32 v34, 0x2f800000, v33
	v_trunc_f32_e32 v34, v34
	s_delay_alu instid0(VALU_DEP_1) | instskip(SKIP_1) | instid1(VALU_DEP_2)
	v_fmamk_f32 v33, v34, 0xcf800000, v33
	v_cvt_u32_f32_e32 v34, v34
	v_cvt_u32_f32_e32 v33, v33
	s_delay_alu instid0(VALU_DEP_2) | instskip(NEXT) | instid1(VALU_DEP_2)
	v_readfirstlane_b32 s2, v34
	v_readfirstlane_b32 s3, v33
	s_delay_alu instid0(VALU_DEP_2) | instskip(NEXT) | instid1(VALU_DEP_1)
	s_mul_i32 s7, s5, s2
	s_mul_hi_u32 s9, s5, s3
	s_mul_i32 s8, s6, s3
	s_add_i32 s7, s9, s7
	s_mul_i32 s10, s5, s3
	s_add_i32 s7, s7, s8
	s_mul_hi_u32 s9, s3, s10
	s_mul_hi_u32 s11, s2, s10
	s_mul_i32 s8, s2, s10
	s_mul_hi_u32 s10, s3, s7
	s_mul_i32 s3, s3, s7
	s_mul_hi_u32 s12, s2, s7
	s_add_u32 s3, s9, s3
	s_addc_u32 s9, 0, s10
	s_add_u32 s3, s3, s8
	s_mul_i32 s7, s2, s7
	s_addc_u32 s3, s9, s11
	s_addc_u32 s8, s12, 0
	s_add_u32 s3, s3, s7
	s_addc_u32 s7, 0, s8
	v_add_co_u32 v33, s3, v33, s3
	s_delay_alu instid0(VALU_DEP_1) | instskip(SKIP_1) | instid1(VALU_DEP_1)
	s_cmp_lg_u32 s3, 0
	s_addc_u32 s2, s2, s7
	v_readfirstlane_b32 s3, v33
	s_mul_i32 s7, s5, s2
	s_delay_alu instid0(VALU_DEP_1)
	s_mul_hi_u32 s8, s5, s3
	s_mul_i32 s6, s6, s3
	s_add_i32 s7, s8, s7
	s_mul_i32 s5, s5, s3
	s_add_i32 s7, s7, s6
	s_mul_hi_u32 s8, s2, s5
	s_mul_i32 s9, s2, s5
	s_mul_hi_u32 s5, s3, s5
	s_mul_hi_u32 s10, s3, s7
	s_mul_i32 s3, s3, s7
	s_mul_hi_u32 s6, s2, s7
	s_add_u32 s3, s5, s3
	s_addc_u32 s5, 0, s10
	s_add_u32 s3, s3, s9
	s_mul_i32 s7, s2, s7
	s_addc_u32 s3, s5, s8
	s_addc_u32 s5, s6, 0
	s_add_u32 s3, s3, s7
	s_addc_u32 s5, 0, s5
	v_add_co_u32 v33, s3, v33, s3
	s_delay_alu instid0(VALU_DEP_1) | instskip(SKIP_1) | instid1(VALU_DEP_1)
	s_cmp_lg_u32 s3, 0
	s_addc_u32 s2, s2, s5
	v_readfirstlane_b32 s3, v33
	s_mul_i32 s6, s36, s2
	s_mul_hi_u32 s5, s36, s2
	s_mul_hi_u32 s7, s37, s2
	s_mul_i32 s2, s37, s2
	s_mul_hi_u32 s8, s36, s3
	s_mul_hi_u32 s9, s37, s3
	s_mul_i32 s3, s37, s3
	s_add_u32 s6, s8, s6
	s_addc_u32 s5, 0, s5
	s_add_u32 s3, s6, s3
	s_addc_u32 s3, s5, s9
	s_addc_u32 s5, s7, 0
	s_add_u32 s3, s3, s2
	s_addc_u32 s5, 0, s5
	s_mul_hi_u32 s2, s38, s3
	s_mul_i32 s7, s38, s5
	s_mul_i32 s8, s38, s3
	s_add_i32 s2, s2, s7
	v_sub_co_u32 v33, s7, s36, s8
	s_mul_i32 s6, s39, s3
	s_delay_alu instid0(SALU_CYCLE_1) | instskip(NEXT) | instid1(VALU_DEP_1)
	s_add_i32 s2, s2, s6
	v_sub_co_u32 v34, s8, v33, s38
	s_sub_i32 s6, s37, s2
	s_cmp_lg_u32 s7, 0
	s_subb_u32 s6, s6, s39
	s_cmp_lg_u32 s8, 0
	v_cmp_le_u32_e32 vcc_lo, s38, v34
	s_subb_u32 s6, s6, 0
	s_delay_alu instid0(SALU_CYCLE_1)
	s_cmp_ge_u32 s6, s39
	v_cndmask_b32_e64 v34, 0, -1, vcc_lo
	s_cselect_b32 s8, -1, 0
	s_cmp_eq_u32 s6, s39
	s_cselect_b32 vcc_lo, -1, 0
	s_add_u32 s6, s3, 1
	v_cndmask_b32_e32 v34, s8, v34, vcc_lo
	s_addc_u32 s8, s5, 0
	s_add_u32 s9, s3, 2
	s_addc_u32 s10, s5, 0
	s_cmp_lg_u32 s7, 0
	v_cmp_le_u32_e32 vcc_lo, s38, v33
	s_subb_u32 s2, s37, s2
	v_mov_b32_e32 v52, s9
	s_cmp_ge_u32 s2, s39
	v_cndmask_b32_e64 v33, 0, -1, vcc_lo
	s_cselect_b32 s7, -1, 0
	s_cmp_eq_u32 s2, s39
	v_cmp_ne_u32_e32 vcc_lo, 0, v34
	v_mov_b32_e32 v34, s10
	s_cselect_b32 s2, -1, 0
	s_delay_alu instid0(SALU_CYCLE_1) | instskip(SKIP_1) | instid1(VALU_DEP_3)
	v_cndmask_b32_e64 v33, s7, v33, s2
	v_cndmask_b32_e32 v52, s6, v52, vcc_lo
	v_cndmask_b32_e32 v34, s8, v34, vcc_lo
	s_delay_alu instid0(VALU_DEP_3) | instskip(NEXT) | instid1(VALU_DEP_2)
	v_cmp_ne_u32_e32 vcc_lo, 0, v33
	v_cndmask_b32_e32 v34, s5, v34, vcc_lo
	s_delay_alu instid0(VALU_DEP_4)
	v_cndmask_b32_e32 v33, s3, v52, vcc_lo
	s_and_not1_b32 vcc_lo, exec_lo, s4
	s_cbranch_vccnz .LBB10_250
.LBB10_249:
	v_cvt_f32_u32_e32 v33, s38
	s_sub_i32 s3, 0, s38
	s_delay_alu instid0(VALU_DEP_1) | instskip(SKIP_2) | instid1(VALU_DEP_1)
	v_rcp_iflag_f32_e32 v33, v33
	s_waitcnt_depctr 0xfff
	v_mul_f32_e32 v33, 0x4f7ffffe, v33
	v_cvt_u32_f32_e32 v33, v33
	s_delay_alu instid0(VALU_DEP_1) | instskip(NEXT) | instid1(VALU_DEP_1)
	v_readfirstlane_b32 s2, v33
	s_mul_i32 s3, s3, s2
	s_delay_alu instid0(SALU_CYCLE_1) | instskip(NEXT) | instid1(SALU_CYCLE_1)
	s_mul_hi_u32 s3, s2, s3
	s_add_i32 s2, s2, s3
	s_delay_alu instid0(SALU_CYCLE_1) | instskip(NEXT) | instid1(SALU_CYCLE_1)
	s_mul_hi_u32 s2, s36, s2
	s_mul_i32 s3, s2, s38
	s_add_i32 s4, s2, 1
	s_sub_i32 s3, s36, s3
	s_delay_alu instid0(SALU_CYCLE_1)
	s_sub_i32 s5, s3, s38
	s_cmp_ge_u32 s3, s38
	s_cselect_b32 s2, s4, s2
	s_cselect_b32 s3, s5, s3
	s_add_i32 s4, s2, 1
	s_cmp_ge_u32 s3, s38
	s_mov_b32 s3, 0
	s_cselect_b32 s2, s4, s2
	s_delay_alu instid0(SALU_CYCLE_1)
	v_dual_mov_b32 v34, s3 :: v_dual_mov_b32 v33, s2
.LBB10_250:
	v_lshlrev_b32_e32 v52, 3, v0
	s_mov_b32 s2, exec_lo
	s_waitcnt lgkmcnt(0)
	ds_store_b64 v52, v[7:8] offset:33792
	s_waitcnt lgkmcnt(0)
	s_barrier
	buffer_gl0_inv
	v_cmpx_ne_u32_e32 0, v0
	s_cbranch_execz .LBB10_252
; %bb.251:
	ds_load_b64 v[33:34], v52 offset:33784
.LBB10_252:
	s_or_b32 exec_lo, exec_lo, s2
	v_lshlrev_b32_e32 v52, 2, v0
	s_waitcnt lgkmcnt(0)
	s_barrier
	buffer_gl0_inv
	v_lshlrev_b32_e32 v69, 2, v38
	v_add_co_u32 v52, s2, s31, v52
	s_delay_alu instid0(VALU_DEP_1) | instskip(SKIP_1) | instid1(VALU_DEP_3)
	v_add_co_ci_u32_e64 v53, null, s33, 0, s2
	v_cmp_ne_u64_e64 s2, v[5:6], v[7:8]
	v_add_co_u32 v54, vcc_lo, 0x1000, v52
	s_delay_alu instid0(VALU_DEP_3)
	v_add_co_ci_u32_e32 v55, vcc_lo, 0, v53, vcc_lo
	s_clause 0x7
	flat_load_b32 v56, v[52:53]
	flat_load_b32 v57, v[52:53] offset:1024
	flat_load_b32 v58, v[52:53] offset:2048
	;; [unrolled: 1-line block ×3, first 2 shown]
	flat_load_b32 v60, v[54:55]
	flat_load_b32 v61, v[54:55] offset:1024
	flat_load_b32 v62, v[54:55] offset:2048
	;; [unrolled: 1-line block ×3, first 2 shown]
	v_add_co_u32 v54, vcc_lo, 0x2000, v52
	v_add_co_ci_u32_e32 v55, vcc_lo, 0, v53, vcc_lo
	v_add_co_u32 v52, vcc_lo, 0x3000, v52
	v_add_co_ci_u32_e32 v53, vcc_lo, 0, v53, vcc_lo
	s_clause 0x7
	flat_load_b32 v64, v[54:55]
	flat_load_b32 v65, v[54:55] offset:1024
	flat_load_b32 v66, v[54:55] offset:2048
	;; [unrolled: 1-line block ×3, first 2 shown]
	flat_load_b32 v55, v[52:53]
	flat_load_b32 v67, v[52:53] offset:1024
	flat_load_b32 v68, v[52:53] offset:2048
	;; [unrolled: 1-line block ×3, first 2 shown]
	v_cmp_ne_u64_e32 vcc_lo, v[33:34], v[29:30]
	v_lshlrev_b32_e32 v8, 2, v36
	v_lshlrev_b32_e32 v7, 2, v35
	v_lshlrev_b32_e32 v35, 2, v40
	v_lshlrev_b32_e32 v71, 2, v42
	v_lshlrev_b32_e32 v70, 2, v44
	v_cndmask_b32_e64 v36, 0, 1, vcc_lo
	v_cmp_ne_u64_e32 vcc_lo, v[29:30], v[31:32]
	v_lshlrev_b32_e32 v72, 2, v46
	v_lshlrev_b32_e32 v73, 2, v48
	v_lshlrev_b32_e32 v74, 2, v50
	v_lshlrev_b32_e32 v37, 2, v37
	v_lshlrev_b32_e32 v39, 2, v39
	v_cndmask_b32_e64 v38, 0, 1, vcc_lo
	;; [unrolled: 7-line block ×3, first 2 shown]
	v_cmp_ne_u64_e32 vcc_lo, v[25:26], v[27:28]
	v_lshlrev_b32_e32 v51, 2, v51
	s_mov_b32 s3, -1
                                        ; implicit-def: $sgpr4_sgpr5
	s_waitcnt vmcnt(15) lgkmcnt(15)
	ds_store_b32 v7, v56
	s_waitcnt vmcnt(14) lgkmcnt(15)
	ds_store_b32 v8, v57 offset:1024
	s_waitcnt vmcnt(13) lgkmcnt(15)
	ds_store_b32 v35, v58 offset:2048
	;; [unrolled: 2-line block ×15, first 2 shown]
	v_cndmask_b32_e64 v42, 0, 1, vcc_lo
	v_cmp_ne_u64_e32 vcc_lo, v[27:28], v[21:22]
	s_waitcnt lgkmcnt(0)
	s_barrier
	buffer_gl0_inv
	v_cndmask_b32_e64 v44, 0, 1, vcc_lo
	v_cmp_ne_u64_e32 vcc_lo, v[21:22], v[23:24]
	v_cndmask_b32_e64 v46, 0, 1, vcc_lo
	v_cmp_ne_u64_e32 vcc_lo, v[23:24], v[17:18]
	;; [unrolled: 2-line block ×3, first 2 shown]
	ds_load_2addr_b32 v[7:8], v74 offset1:1
	ds_load_2addr_b32 v[17:18], v74 offset0:2 offset1:3
	v_cndmask_b32_e64 v50, 0, 1, vcc_lo
	v_cmp_ne_u64_e32 vcc_lo, v[19:20], v[13:14]
	v_cndmask_b32_e64 v52, 0, 1, vcc_lo
	v_cmp_ne_u64_e32 vcc_lo, v[13:14], v[15:16]
	ds_load_2addr_b32 v[13:14], v74 offset0:4 offset1:5
	ds_load_2addr_b32 v[19:20], v74 offset0:6 offset1:7
	v_cndmask_b32_e64 v54, 0, 1, vcc_lo
	v_cmp_ne_u64_e32 vcc_lo, v[15:16], v[9:10]
	s_waitcnt lgkmcnt(3)
	v_mov_b32_e32 v35, v7
	v_mov_b32_e32 v37, v8
	s_waitcnt lgkmcnt(2)
	v_mov_b32_e32 v39, v17
	v_mov_b32_e32 v41, v18
	v_cndmask_b32_e64 v56, 0, 1, vcc_lo
	v_cmp_ne_u64_e32 vcc_lo, v[9:10], v[11:12]
	s_waitcnt lgkmcnt(1)
	v_mov_b32_e32 v43, v13
	ds_load_2addr_b32 v[15:16], v74 offset0:8 offset1:9
	ds_load_2addr_b32 v[21:22], v74 offset0:10 offset1:11
	;; [unrolled: 1-line block ×4, first 2 shown]
	v_cndmask_b32_e64 v58, 0, 1, vcc_lo
	v_cmp_ne_u64_e32 vcc_lo, v[11:12], v[1:2]
	v_mov_b32_e32 v45, v14
	s_waitcnt lgkmcnt(4)
	v_mov_b32_e32 v47, v19
	v_mov_b32_e32 v49, v20
	v_cndmask_b32_e64 v60, 0, 1, vcc_lo
	v_cmp_ne_u64_e32 vcc_lo, v[1:2], v[3:4]
	v_cndmask_b32_e64 v62, 0, 1, vcc_lo
	v_cmp_ne_u64_e32 vcc_lo, v[3:4], v[5:6]
	s_waitcnt lgkmcnt(3)
	v_mov_b32_e32 v51, v15
	v_mov_b32_e32 v53, v16
	s_waitcnt lgkmcnt(2)
	v_mov_b32_e32 v55, v21
	v_mov_b32_e32 v57, v22
	v_cndmask_b32_e64 v64, 0, 1, vcc_lo
	s_waitcnt lgkmcnt(1)
	v_mov_b32_e32 v59, v9
	v_mov_b32_e32 v61, v10
	s_waitcnt lgkmcnt(0)
	v_mov_b32_e32 v63, v65
.LBB10_253:
	v_dual_mov_b32 v7, s5 :: v_dual_mov_b32 v6, s4
	s_and_saveexec_b32 s4, s3
	s_cbranch_execz .LBB10_255
; %bb.254:
	v_cndmask_b32_e64 v7, 0, 1, s2
	s_waitcnt lgkmcnt(0)
	v_mov_b32_e32 v6, v66
.LBB10_255:
	s_or_b32 exec_lo, exec_lo, s4
	s_load_b64 s[26:27], s[0:1], 0x20
	v_or3_b32 v13, v7, v64, v62
	v_lshrrev_b32_e32 v12, 5, v0
	v_cmp_gt_u32_e32 vcc_lo, 32, v0
	s_cmp_lg_u32 s15, 0
	s_mov_b32 s16, 0
	s_waitcnt lgkmcnt(0)
	s_barrier
	buffer_gl0_inv
	s_cbranch_scc0 .LBB10_287
; %bb.256:
	s_mov_b32 s17, 1
	v_or3_b32 v2, v13, v60, v58
	v_cmp_gt_u64_e64 s0, s[16:17], v[37:38]
	v_cmp_gt_u64_e64 s1, s[16:17], v[39:40]
	;; [unrolled: 1-line block ×6, first 2 shown]
	v_cndmask_b32_e64 v1, 0, v35, s0
	v_cmp_gt_u64_e64 s6, s[16:17], v[49:50]
	v_cmp_gt_u64_e64 s7, s[16:17], v[51:52]
	;; [unrolled: 1-line block ×4, first 2 shown]
	v_add_nc_u32_e32 v1, v1, v37
	v_cmp_gt_u64_e64 s10, s[16:17], v[57:58]
	v_cmp_gt_u64_e64 s11, s[16:17], v[59:60]
	v_or3_b32 v2, v2, v56, v54
	v_cmp_gt_u64_e64 s12, s[16:17], v[61:62]
	v_cndmask_b32_e64 v1, 0, v1, s1
	v_cmp_gt_u64_e64 s13, s[16:17], v[63:64]
	v_cmp_gt_u64_e64 s14, s[16:17], v[6:7]
	v_or3_b32 v2, v2, v52, v50
	v_add_lshl_u32 v3, v12, v0, 3
	v_add_nc_u32_e32 v1, v1, v39
	s_delay_alu instid0(VALU_DEP_3) | instskip(NEXT) | instid1(VALU_DEP_2)
	v_or3_b32 v2, v2, v48, v46
	v_cndmask_b32_e64 v1, 0, v1, s2
	s_delay_alu instid0(VALU_DEP_2) | instskip(NEXT) | instid1(VALU_DEP_2)
	v_or3_b32 v2, v2, v44, v42
	v_add_nc_u32_e32 v1, v1, v41
	s_delay_alu instid0(VALU_DEP_2) | instskip(NEXT) | instid1(VALU_DEP_2)
	v_or3_b32 v2, v2, v40, v38
	v_cndmask_b32_e64 v1, 0, v1, s3
	s_delay_alu instid0(VALU_DEP_2) | instskip(NEXT) | instid1(VALU_DEP_2)
	v_and_b32_e32 v2, 1, v2
	v_add_nc_u32_e32 v1, v1, v43
	s_delay_alu instid0(VALU_DEP_2) | instskip(NEXT) | instid1(VALU_DEP_2)
	v_cmp_eq_u32_e64 s16, 1, v2
	v_cndmask_b32_e64 v1, 0, v1, s4
	s_delay_alu instid0(VALU_DEP_2) | instskip(NEXT) | instid1(VALU_DEP_2)
	v_cndmask_b32_e64 v15, v36, 1, s16
	v_add_nc_u32_e32 v1, v1, v45
	s_delay_alu instid0(VALU_DEP_1) | instskip(NEXT) | instid1(VALU_DEP_1)
	v_cndmask_b32_e64 v1, 0, v1, s5
	v_add_nc_u32_e32 v1, v1, v47
	s_delay_alu instid0(VALU_DEP_1) | instskip(NEXT) | instid1(VALU_DEP_1)
	;; [unrolled: 3-line block ×10, first 2 shown]
	v_cndmask_b32_e64 v1, 0, v1, s14
	v_add_nc_u32_e32 v14, v1, v6
	ds_store_b32 v3, v14
	ds_store_b8 v3, v15 offset:4
	s_waitcnt lgkmcnt(0)
	s_barrier
	buffer_gl0_inv
	s_and_saveexec_b32 s17, vcc_lo
	s_cbranch_execz .LBB10_266
; %bb.257:
	v_lshlrev_b32_e32 v1, 1, v0
	s_mov_b32 s18, exec_lo
	s_delay_alu instid0(VALU_DEP_1) | instskip(NEXT) | instid1(VALU_DEP_1)
	v_and_b32_e32 v1, 0x1f8, v1
	v_lshl_or_b32 v3, v0, 6, v1
	ds_load_u8 v10, v3 offset:12
	ds_load_b64 v[1:2], v3
	ds_load_u8 v11, v3 offset:20
	ds_load_2addr_b32 v[4:5], v3 offset0:2 offset1:4
	ds_load_u8 v16, v3 offset:28
	ds_load_u8 v17, v3 offset:36
	;; [unrolled: 1-line block ×4, first 2 shown]
	ds_load_b32 v20, v3 offset:56
	ds_load_u8 v21, v3 offset:60
	s_waitcnt lgkmcnt(9)
	v_and_b32_e32 v8, 0xff, v10
	s_waitcnt lgkmcnt(7)
	v_and_b32_e32 v23, 0xff, v11
	s_delay_alu instid0(VALU_DEP_2)
	v_cmp_eq_u16_e64 s16, 0, v8
	ds_load_2addr_b32 v[8:9], v3 offset0:6 offset1:8
	s_waitcnt lgkmcnt(5)
	v_and_b32_e32 v24, 0xff, v17
	v_cndmask_b32_e64 v22, 0, v1, s16
	v_cmp_eq_u16_e64 s16, 0, v23
	s_delay_alu instid0(VALU_DEP_2) | instskip(SKIP_1) | instid1(VALU_DEP_2)
	v_add_nc_u32_e32 v4, v22, v4
	v_and_b32_e32 v22, 0xff, v16
	v_cndmask_b32_e64 v4, 0, v4, s16
	s_delay_alu instid0(VALU_DEP_2) | instskip(NEXT) | instid1(VALU_DEP_2)
	v_cmp_eq_u16_e64 s16, 0, v22
	v_add_nc_u32_e32 v4, v4, v5
	s_waitcnt lgkmcnt(1)
	v_or_b32_e32 v5, v21, v19
	s_delay_alu instid0(VALU_DEP_2) | instskip(NEXT) | instid1(VALU_DEP_2)
	v_cndmask_b32_e64 v22, 0, v4, s16
	v_or_b32_e32 v23, v5, v18
	ds_load_2addr_b32 v[4:5], v3 offset0:10 offset1:12
	v_cmp_eq_u16_e64 s16, 0, v24
	s_waitcnt lgkmcnt(1)
	v_add_nc_u32_e32 v8, v22, v8
	v_or_b32_e32 v17, v23, v17
	s_delay_alu instid0(VALU_DEP_2) | instskip(NEXT) | instid1(VALU_DEP_2)
	v_cndmask_b32_e64 v8, 0, v8, s16
	v_or_b32_e32 v16, v17, v16
	v_and_b32_e32 v17, 0xff, v18
	s_delay_alu instid0(VALU_DEP_3) | instskip(NEXT) | instid1(VALU_DEP_3)
	v_add_nc_u32_e32 v8, v8, v9
	v_or_b32_e32 v9, v16, v11
	s_delay_alu instid0(VALU_DEP_3) | instskip(NEXT) | instid1(VALU_DEP_2)
	v_cmp_eq_u16_e64 s16, 0, v17
	v_or_b32_e32 v9, v9, v10
	s_delay_alu instid0(VALU_DEP_2) | instskip(SKIP_1) | instid1(VALU_DEP_3)
	v_cndmask_b32_e64 v8, 0, v8, s16
	v_and_b32_e32 v10, 0xff, v19
	v_and_b32_e32 v9, 1, v9
	s_waitcnt lgkmcnt(0)
	s_delay_alu instid0(VALU_DEP_3) | instskip(NEXT) | instid1(VALU_DEP_3)
	v_add_nc_u32_e32 v8, v8, v4
	v_cmp_eq_u16_e64 s16, 0, v10
	v_and_b32_e32 v4, 1, v2
	s_delay_alu instid0(VALU_DEP_2) | instskip(SKIP_2) | instid1(VALU_DEP_3)
	v_cndmask_b32_e64 v8, 0, v8, s16
	v_cmp_eq_u32_e64 s16, 1, v9
	v_mbcnt_lo_u32_b32 v9, -1, 0
	v_add_nc_u32_e32 v8, v8, v5
	s_delay_alu instid0(VALU_DEP_3) | instskip(SKIP_2) | instid1(VALU_DEP_3)
	v_cndmask_b32_e64 v10, v4, 1, s16
	v_cmp_eq_u16_e64 s16, 0, v21
	v_and_b32_e32 v5, 0xffffff00, v2
	v_and_b32_e32 v11, 0xffff, v10
	s_delay_alu instid0(VALU_DEP_3) | instskip(NEXT) | instid1(VALU_DEP_2)
	v_cndmask_b32_e64 v8, 0, v8, s16
	v_or_b32_e32 v16, v5, v11
	s_delay_alu instid0(VALU_DEP_2) | instskip(SKIP_1) | instid1(VALU_DEP_3)
	v_add_nc_u32_e32 v8, v8, v20
	v_and_b32_e32 v11, 15, v9
	v_mov_b32_dpp v18, v16 row_shr:1 row_mask:0xf bank_mask:0xf
	s_delay_alu instid0(VALU_DEP_3) | instskip(NEXT) | instid1(VALU_DEP_3)
	v_mov_b32_dpp v17, v8 row_shr:1 row_mask:0xf bank_mask:0xf
	v_cmpx_ne_u32_e32 0, v11
; %bb.258:
	v_and_b32_e32 v16, 1, v10
	s_delay_alu instid0(VALU_DEP_4) | instskip(NEXT) | instid1(VALU_DEP_2)
	v_and_b32_e32 v18, 1, v18
	v_cmp_eq_u32_e64 s16, 1, v16
	s_delay_alu instid0(VALU_DEP_1) | instskip(SKIP_1) | instid1(VALU_DEP_2)
	v_cndmask_b32_e64 v18, v18, 1, s16
	v_cmp_eq_u16_e64 s16, 0, v10
	v_and_b32_e32 v16, 0xffff, v18
	s_delay_alu instid0(VALU_DEP_2) | instskip(NEXT) | instid1(VALU_DEP_2)
	v_cndmask_b32_e64 v10, 0, v17, s16
	v_or_b32_e32 v16, v5, v16
	s_delay_alu instid0(VALU_DEP_2)
	v_add_nc_u32_e32 v8, v10, v8
	v_mov_b32_e32 v10, v18
; %bb.259:
	s_or_b32 exec_lo, exec_lo, s18
	s_delay_alu instid0(VALU_DEP_2)
	v_mov_b32_dpp v17, v8 row_shr:2 row_mask:0xf bank_mask:0xf
	v_mov_b32_dpp v18, v16 row_shr:2 row_mask:0xf bank_mask:0xf
	s_mov_b32 s18, exec_lo
	v_cmpx_lt_u32_e32 1, v11
; %bb.260:
	v_and_b32_e32 v16, 1, v10
	s_delay_alu instid0(VALU_DEP_3) | instskip(NEXT) | instid1(VALU_DEP_2)
	v_and_b32_e32 v18, 1, v18
	v_cmp_eq_u32_e64 s16, 1, v16
	s_delay_alu instid0(VALU_DEP_1) | instskip(SKIP_1) | instid1(VALU_DEP_2)
	v_cndmask_b32_e64 v18, v18, 1, s16
	v_cmp_eq_u16_e64 s16, 0, v10
	v_and_b32_e32 v16, 0xffff, v18
	s_delay_alu instid0(VALU_DEP_2) | instskip(NEXT) | instid1(VALU_DEP_2)
	v_cndmask_b32_e64 v10, 0, v17, s16
	v_or_b32_e32 v16, v5, v16
	s_delay_alu instid0(VALU_DEP_2)
	v_add_nc_u32_e32 v8, v10, v8
	v_mov_b32_e32 v10, v18
; %bb.261:
	s_or_b32 exec_lo, exec_lo, s18
	s_delay_alu instid0(VALU_DEP_2)
	v_mov_b32_dpp v17, v8 row_shr:4 row_mask:0xf bank_mask:0xf
	v_mov_b32_dpp v18, v16 row_shr:4 row_mask:0xf bank_mask:0xf
	s_mov_b32 s18, exec_lo
	v_cmpx_lt_u32_e32 3, v11
; %bb.262:
	v_and_b32_e32 v16, 1, v10
	s_delay_alu instid0(VALU_DEP_3) | instskip(NEXT) | instid1(VALU_DEP_2)
	;; [unrolled: 22-line block ×3, first 2 shown]
	v_and_b32_e32 v16, 1, v18
	v_cmp_eq_u32_e64 s16, 1, v11
	s_delay_alu instid0(VALU_DEP_1) | instskip(SKIP_1) | instid1(VALU_DEP_2)
	v_cndmask_b32_e64 v11, v16, 1, s16
	v_cmp_eq_u16_e64 s16, 0, v10
	v_and_b32_e32 v16, 0xffff, v11
	s_delay_alu instid0(VALU_DEP_2) | instskip(NEXT) | instid1(VALU_DEP_2)
	v_cndmask_b32_e64 v10, 0, v17, s16
	v_or_b32_e32 v16, v5, v16
	s_delay_alu instid0(VALU_DEP_2)
	v_add_nc_u32_e32 v8, v10, v8
	v_mov_b32_e32 v10, v11
; %bb.265:
	s_or_b32 exec_lo, exec_lo, s18
	ds_swizzle_b32 v11, v16 offset:swizzle(BROADCAST,32,15)
	ds_swizzle_b32 v16, v8 offset:swizzle(BROADCAST,32,15)
	v_and_b32_e32 v17, 1, v10
	v_and_b32_e32 v18, 16, v9
	v_bfe_i32 v19, v9, 4, 1
	v_and_b32_e32 v2, 0xff, v2
	s_delay_alu instid0(VALU_DEP_4) | instskip(SKIP_3) | instid1(VALU_DEP_1)
	v_cmp_eq_u32_e64 s16, 1, v17
	v_add_nc_u32_e32 v17, -1, v9
	; wave barrier
	s_waitcnt lgkmcnt(1)
	v_and_b32_e32 v11, 1, v11
	v_cndmask_b32_e64 v11, v11, 1, s16
	v_cmp_eq_u16_e64 s16, 0, v10
	s_waitcnt lgkmcnt(0)
	s_delay_alu instid0(VALU_DEP_1) | instskip(SKIP_1) | instid1(VALU_DEP_1)
	v_cndmask_b32_e64 v16, 0, v16, s16
	v_cmp_eq_u32_e64 s16, 0, v18
	v_cndmask_b32_e64 v10, v11, v10, s16
	v_cmp_gt_i32_e64 s16, 0, v17
	s_delay_alu instid0(VALU_DEP_4) | instskip(NEXT) | instid1(VALU_DEP_3)
	v_and_b32_e32 v11, v19, v16
	v_and_b32_e32 v10, 0xffff, v10
	s_delay_alu instid0(VALU_DEP_3) | instskip(NEXT) | instid1(VALU_DEP_3)
	v_cndmask_b32_e64 v9, v17, v9, s16
	v_add_nc_u32_e32 v8, v11, v8
	v_cmp_eq_u16_e64 s16, 0, v2
	s_delay_alu instid0(VALU_DEP_4) | instskip(NEXT) | instid1(VALU_DEP_4)
	v_or_b32_e32 v5, v5, v10
	v_lshlrev_b32_e32 v9, 2, v9
	ds_bpermute_b32 v8, v9, v8
	ds_bpermute_b32 v5, v9, v5
	s_waitcnt lgkmcnt(1)
	v_cndmask_b32_e64 v2, 0, v8, s16
	s_waitcnt lgkmcnt(0)
	v_and_b32_e32 v5, 1, v5
	v_cmp_eq_u32_e64 s16, 1, v4
	s_delay_alu instid0(VALU_DEP_3) | instskip(NEXT) | instid1(VALU_DEP_2)
	v_add_nc_u32_e32 v1, v2, v1
	v_cndmask_b32_e64 v2, v5, 1, s16
	v_cmp_eq_u32_e64 s16, 0, v0
	s_delay_alu instid0(VALU_DEP_1) | instskip(NEXT) | instid1(VALU_DEP_3)
	v_cndmask_b32_e64 v4, v1, v14, s16
	v_cndmask_b32_e64 v8, v2, v15, s16
	ds_store_b32 v3, v4
	ds_store_b8 v3, v8 offset:4
	; wave barrier
	ds_load_u8 v9, v3 offset:12
	ds_load_2addr_b32 v[1:2], v3 offset0:2 offset1:4
	ds_load_u8 v10, v3 offset:20
	ds_load_u8 v11, v3 offset:28
	;; [unrolled: 1-line block ×5, first 2 shown]
	ds_load_b32 v19, v3 offset:56
	ds_load_u8 v20, v3 offset:60
	s_waitcnt lgkmcnt(8)
	v_cmp_eq_u16_e64 s16, 0, v9
	v_and_b32_e32 v9, 1, v9
	s_delay_alu instid0(VALU_DEP_2)
	v_cndmask_b32_e64 v21, 0, v4, s16
	ds_load_2addr_b32 v[4:5], v3 offset0:6 offset1:8
	s_waitcnt lgkmcnt(7)
	v_cmp_eq_u16_e64 s16, 0, v10
	v_and_b32_e32 v10, 1, v10
	v_add_nc_u32_e32 v21, v21, v1
	s_delay_alu instid0(VALU_DEP_1) | instskip(SKIP_2) | instid1(VALU_DEP_2)
	v_cndmask_b32_e64 v1, 0, v21, s16
	s_waitcnt lgkmcnt(6)
	v_cmp_eq_u16_e64 s16, 0, v11
	v_add_nc_u32_e32 v22, v1, v2
	ds_load_2addr_b32 v[1:2], v3 offset0:10 offset1:12
	v_cndmask_b32_e64 v23, 0, v22, s16
	s_waitcnt lgkmcnt(6)
	v_cmp_eq_u16_e64 s16, 0, v16
	ds_store_2addr_b32 v3, v21, v22 offset0:2 offset1:4
	s_waitcnt lgkmcnt(2)
	v_add_nc_u32_e32 v4, v23, v4
	s_delay_alu instid0(VALU_DEP_1) | instskip(SKIP_3) | instid1(VALU_DEP_4)
	v_cndmask_b32_e64 v23, 0, v4, s16
	v_cmp_eq_u32_e64 s16, 1, v9
	v_and_b32_e32 v9, 1, v11
	v_and_b32_e32 v11, 1, v16
	v_add_nc_u32_e32 v5, v23, v5
	s_delay_alu instid0(VALU_DEP_4) | instskip(SKIP_2) | instid1(VALU_DEP_2)
	v_cndmask_b32_e64 v8, v8, 1, s16
	v_cmp_eq_u32_e64 s16, 1, v10
	v_and_b32_e32 v23, 1, v20
	v_cndmask_b32_e64 v10, v8, 1, s16
	v_cmp_eq_u16_e64 s16, 0, v17
	v_and_b32_e32 v17, 1, v17
	s_delay_alu instid0(VALU_DEP_2) | instskip(SKIP_2) | instid1(VALU_DEP_2)
	v_cndmask_b32_e64 v16, 0, v5, s16
	v_cmp_eq_u32_e64 s16, 1, v9
	s_waitcnt lgkmcnt(1)
	v_add_nc_u32_e32 v1, v16, v1
	s_delay_alu instid0(VALU_DEP_2) | instskip(SKIP_2) | instid1(VALU_DEP_2)
	v_cndmask_b32_e64 v9, v10, 1, s16
	v_cmp_eq_u32_e64 s16, 1, v11
	v_and_b32_e32 v16, 1, v18
	v_cndmask_b32_e64 v11, v9, 1, s16
	v_cmp_eq_u16_e64 s16, 0, v18
	s_delay_alu instid0(VALU_DEP_1) | instskip(SKIP_1) | instid1(VALU_DEP_2)
	v_cndmask_b32_e64 v18, 0, v1, s16
	v_cmp_eq_u32_e64 s16, 1, v17
	v_add_nc_u32_e32 v2, v18, v2
	s_delay_alu instid0(VALU_DEP_2)
	v_cndmask_b32_e64 v17, v11, 1, s16
	v_cmp_eq_u32_e64 s16, 1, v16
	ds_store_2addr_b32 v3, v4, v5 offset0:6 offset1:8
	ds_store_2addr_b32 v3, v1, v2 offset0:10 offset1:12
	v_cndmask_b32_e64 v16, v17, 1, s16
	v_cmp_eq_u16_e64 s16, 0, v20
	s_delay_alu instid0(VALU_DEP_1) | instskip(SKIP_1) | instid1(VALU_DEP_2)
	v_cndmask_b32_e64 v18, 0, v2, s16
	v_cmp_eq_u32_e64 s16, 1, v23
	v_add_nc_u32_e32 v1, v18, v19
	s_delay_alu instid0(VALU_DEP_2)
	v_cndmask_b32_e64 v20, v16, 1, s16
	ds_store_b8 v3, v8 offset:12
	ds_store_b8 v3, v10 offset:20
	;; [unrolled: 1-line block ×6, first 2 shown]
	ds_store_b32 v3, v1 offset:56
	ds_store_b8 v3, v20 offset:60
.LBB10_266:
	s_or_b32 exec_lo, exec_lo, s17
	v_cmp_eq_u32_e64 s16, 0, v0
	s_mov_b32 s18, exec_lo
	s_waitcnt lgkmcnt(0)
	s_barrier
	buffer_gl0_inv
	v_cmpx_ne_u32_e32 0, v0
	s_cbranch_execz .LBB10_268
; %bb.267:
	v_add_nc_u32_e32 v1, -1, v0
	s_delay_alu instid0(VALU_DEP_1) | instskip(NEXT) | instid1(VALU_DEP_1)
	v_lshrrev_b32_e32 v2, 5, v1
	v_add_lshl_u32 v1, v2, v1, 3
	ds_load_b32 v14, v1
	ds_load_u8 v15, v1 offset:4
.LBB10_268:
	s_or_b32 exec_lo, exec_lo, s18
	s_and_saveexec_b32 s31, vcc_lo
	s_cbranch_execz .LBB10_286
; %bb.269:
	v_mov_b32_e32 v4, 0
	v_mbcnt_lo_u32_b32 v16, -1, 0
	s_mov_b32 s19, 0
	ds_load_b64 v[1:2], v4 offset:2096
	v_cmp_eq_u32_e64 s17, 0, v16
	s_waitcnt lgkmcnt(0)
	v_readfirstlane_b32 s33, v2
	s_delay_alu instid0(VALU_DEP_2)
	s_and_saveexec_b32 s36, s17
	s_cbranch_execz .LBB10_271
; %bb.270:
	s_add_i32 s18, s15, 32
	s_mov_b32 s40, s19
	s_lshl_b64 s[38:39], s[18:19], 4
	s_mov_b32 s42, s19
	s_add_u32 s38, s28, s38
	s_addc_u32 s39, s29, s39
	s_and_b32 s41, s33, 0xff000000
	s_and_b32 s43, s33, 0xff0000
	v_dual_mov_b32 v8, s38 :: v_dual_mov_b32 v9, s39
	s_or_b64 s[40:41], s[42:43], s[40:41]
	s_and_b32 s43, s33, 0xff00
	v_mov_b32_e32 v3, 1
	s_or_b64 s[40:41], s[40:41], s[42:43]
	s_and_b32 s43, s33, 0xff
	s_delay_alu instid0(SALU_CYCLE_1) | instskip(NEXT) | instid1(SALU_CYCLE_1)
	s_or_b64 s[40:41], s[40:41], s[42:43]
	v_mov_b32_e32 v2, s41
	;;#ASMSTART
	global_store_dwordx4 v[8:9], v[1:4] off	
s_waitcnt vmcnt(0)
	;;#ASMEND
.LBB10_271:
	s_or_b32 exec_lo, exec_lo, s36
	v_xad_u32 v8, v16, -1, s15
	s_mov_b32 s18, exec_lo
	s_delay_alu instid0(VALU_DEP_1) | instskip(NEXT) | instid1(VALU_DEP_1)
	v_add_nc_u32_e32 v3, 32, v8
	v_lshlrev_b64 v[2:3], 4, v[3:4]
	s_delay_alu instid0(VALU_DEP_1) | instskip(NEXT) | instid1(VALU_DEP_2)
	v_add_co_u32 v9, vcc_lo, s28, v2
	v_add_co_ci_u32_e32 v10, vcc_lo, s29, v3, vcc_lo
	;;#ASMSTART
	global_load_dwordx4 v[2:5], v[9:10] off glc	
s_waitcnt vmcnt(0)
	;;#ASMEND
	v_and_b32_e32 v5, 0xffff, v2
	v_and_b32_e32 v11, 0xff0000, v2
	;; [unrolled: 1-line block ×4, first 2 shown]
	s_delay_alu instid0(VALU_DEP_3) | instskip(SKIP_1) | instid1(VALU_DEP_3)
	v_or_b32_e32 v5, v5, v11
	v_and_b32_e32 v11, 0xff, v4
	v_or3_b32 v3, 0, 0, v3
	s_delay_alu instid0(VALU_DEP_3) | instskip(NEXT) | instid1(VALU_DEP_3)
	v_or3_b32 v2, v5, v2, 0
	v_cmpx_eq_u16_e32 0, v11
	s_cbranch_execz .LBB10_274
.LBB10_272:                             ; =>This Inner Loop Header: Depth=1
	;;#ASMSTART
	global_load_dwordx4 v[2:5], v[9:10] off glc	
s_waitcnt vmcnt(0)
	;;#ASMEND
	v_and_b32_e32 v5, 0xff, v4
	s_delay_alu instid0(VALU_DEP_1) | instskip(SKIP_1) | instid1(SALU_CYCLE_1)
	v_cmp_ne_u16_e32 vcc_lo, 0, v5
	s_or_b32 s19, vcc_lo, s19
	s_and_not1_b32 exec_lo, exec_lo, s19
	s_cbranch_execnz .LBB10_272
; %bb.273:
	s_or_b32 exec_lo, exec_lo, s19
	v_and_b32_e32 v3, 0xff, v3
.LBB10_274:
	s_or_b32 exec_lo, exec_lo, s18
	v_cmp_ne_u32_e32 vcc_lo, 31, v16
	v_and_b32_e32 v9, 0xff, v4
	v_lshlrev_b32_e64 v18, v16, -1
	s_mov_b32 s36, 0
	s_mov_b32 s37, 1
	v_add_co_ci_u32_e32 v5, vcc_lo, 0, v16, vcc_lo
	v_cmp_eq_u16_e32 vcc_lo, 2, v9
	v_and_b32_e32 v9, 1, v3
	v_cmp_gt_u64_e64 s18, s[36:37], v[2:3]
	s_delay_alu instid0(VALU_DEP_4)
	v_lshlrev_b32_e32 v17, 2, v5
	v_add_nc_u32_e32 v28, 16, v16
	v_and_or_b32 v10, vcc_lo, v18, 0x80000000
	v_cmp_gt_u32_e32 vcc_lo, 30, v16
	ds_bpermute_b32 v5, v17, v3
	v_cndmask_b32_e64 v11, 0, 1, vcc_lo
	v_cmp_eq_u32_e32 vcc_lo, 1, v9
	v_ctz_i32_b32_e32 v9, v10
	s_waitcnt lgkmcnt(0)
	v_and_b32_e32 v5, 1, v5
	s_delay_alu instid0(VALU_DEP_1) | instskip(NEXT) | instid1(VALU_DEP_3)
	v_cndmask_b32_e64 v5, v5, 1, vcc_lo
	v_cmp_lt_u32_e32 vcc_lo, v16, v9
	v_lshlrev_b32_e32 v10, 1, v11
	s_delay_alu instid0(VALU_DEP_3) | instskip(SKIP_1) | instid1(VALU_DEP_3)
	v_and_b32_e32 v20, 0xffff, v5
	v_cndmask_b32_e32 v5, v3, v5, vcc_lo
	v_add_lshl_u32 v19, v10, v16, 2
	s_delay_alu instid0(VALU_DEP_3)
	v_cndmask_b32_e32 v10, v3, v20, vcc_lo
	ds_bpermute_b32 v11, v17, v2
	s_and_b32 vcc_lo, vcc_lo, s18
	v_and_b32_e32 v23, 0xff, v5
	ds_bpermute_b32 v20, v19, v10
	v_cmp_eq_u16_e64 s18, 0, v23
	s_waitcnt lgkmcnt(1)
	v_cndmask_b32_e32 v3, 0, v11, vcc_lo
	v_and_b32_e32 v11, 1, v5
	v_cmp_gt_u32_e32 vcc_lo, 28, v16
	s_waitcnt lgkmcnt(0)
	v_and_b32_e32 v20, 1, v20
	v_add_nc_u32_e32 v2, v3, v2
	v_cndmask_b32_e64 v21, 0, 1, vcc_lo
	v_cmp_eq_u32_e32 vcc_lo, 1, v11
	ds_bpermute_b32 v3, v19, v2
	v_lshlrev_b32_e32 v21, 2, v21
	v_cndmask_b32_e64 v11, v20, 1, vcc_lo
	v_add_nc_u32_e32 v20, 2, v16
	s_delay_alu instid0(VALU_DEP_3) | instskip(NEXT) | instid1(VALU_DEP_3)
	v_add_lshl_u32 v21, v21, v16, 2
	v_and_b32_e32 v22, 0xffff, v11
	s_delay_alu instid0(VALU_DEP_3) | instskip(NEXT) | instid1(VALU_DEP_2)
	v_cmp_gt_u32_e32 vcc_lo, v20, v9
	v_dual_cndmask_b32 v10, v22, v10 :: v_dual_cndmask_b32 v5, v11, v5
	v_add_nc_u32_e32 v22, 4, v16
	ds_bpermute_b32 v11, v21, v10
	s_waitcnt lgkmcnt(1)
	v_cndmask_b32_e64 v3, 0, v3, s18
	v_and_b32_e32 v23, 1, v5
	s_delay_alu instid0(VALU_DEP_2) | instskip(SKIP_1) | instid1(VALU_DEP_2)
	v_cndmask_b32_e64 v3, v3, 0, vcc_lo
	v_cmp_gt_u32_e32 vcc_lo, 24, v16
	v_add_nc_u32_e32 v2, v3, v2
	v_cndmask_b32_e64 v24, 0, 1, vcc_lo
	v_cmp_eq_u32_e32 vcc_lo, 1, v23
	v_and_b32_e32 v23, 0xff, v5
	ds_bpermute_b32 v3, v21, v2
	v_lshlrev_b32_e32 v24, 3, v24
	v_cmp_eq_u16_e64 s18, 0, v23
	s_waitcnt lgkmcnt(1)
	v_and_b32_e32 v11, 1, v11
	s_delay_alu instid0(VALU_DEP_3) | instskip(SKIP_1) | instid1(VALU_DEP_3)
	v_add_lshl_u32 v23, v24, v16, 2
	v_add_nc_u32_e32 v24, 8, v16
	v_cndmask_b32_e64 v11, v11, 1, vcc_lo
	v_cmp_gt_u32_e32 vcc_lo, v22, v9
	s_delay_alu instid0(VALU_DEP_2) | instskip(NEXT) | instid1(VALU_DEP_1)
	v_and_b32_e32 v25, 0xffff, v11
	v_dual_cndmask_b32 v5, v11, v5 :: v_dual_cndmask_b32 v10, v25, v10
	s_waitcnt lgkmcnt(0)
	v_cndmask_b32_e64 v3, 0, v3, s18
	s_delay_alu instid0(VALU_DEP_2) | instskip(SKIP_4) | instid1(VALU_DEP_2)
	v_and_b32_e32 v25, 1, v5
	v_and_b32_e32 v26, 0xff, v5
	ds_bpermute_b32 v11, v23, v10
	v_cndmask_b32_e64 v3, v3, 0, vcc_lo
	v_cmp_gt_u32_e32 vcc_lo, 16, v16
	v_add_nc_u32_e32 v2, v3, v2
	v_cndmask_b32_e64 v27, 0, 1, vcc_lo
	v_cmp_eq_u32_e32 vcc_lo, 1, v25
	ds_bpermute_b32 v3, v23, v2
	v_lshlrev_b32_e32 v25, 4, v27
	s_delay_alu instid0(VALU_DEP_1) | instskip(SKIP_2) | instid1(VALU_DEP_1)
	v_add_lshl_u32 v27, v25, v16, 2
	s_waitcnt lgkmcnt(1)
	v_and_b32_e32 v11, 1, v11
	v_cndmask_b32_e64 v11, v11, 1, vcc_lo
	v_cmp_eq_u16_e32 vcc_lo, 0, v26
	s_delay_alu instid0(VALU_DEP_2) | instskip(SKIP_3) | instid1(VALU_DEP_2)
	v_and_b32_e32 v26, 0xffff, v11
	s_waitcnt lgkmcnt(0)
	v_cndmask_b32_e32 v3, 0, v3, vcc_lo
	v_cmp_gt_u32_e32 vcc_lo, v24, v9
	v_cndmask_b32_e64 v3, v3, 0, vcc_lo
	v_dual_cndmask_b32 v10, v26, v10 :: v_dual_cndmask_b32 v5, v11, v5
	s_delay_alu instid0(VALU_DEP_2)
	v_add_nc_u32_e32 v2, v3, v2
	ds_bpermute_b32 v3, v27, v10
	v_and_b32_e32 v11, 0xff, v5
	v_and_b32_e32 v25, 1, v5
	ds_bpermute_b32 v10, v27, v2
	v_cmp_eq_u16_e32 vcc_lo, 0, v11
	s_waitcnt lgkmcnt(0)
	v_dual_cndmask_b32 v10, 0, v10 :: v_dual_and_b32 v3, 1, v3
	v_cmp_eq_u32_e32 vcc_lo, 1, v25
	s_delay_alu instid0(VALU_DEP_2) | instskip(SKIP_2) | instid1(VALU_DEP_3)
	v_cndmask_b32_e64 v3, v3, 1, vcc_lo
	v_cmp_gt_u32_e32 vcc_lo, v28, v9
	v_mov_b32_e32 v9, 0
	v_cndmask_b32_e32 v3, v3, v5, vcc_lo
	v_cndmask_b32_e64 v5, v10, 0, vcc_lo
	s_delay_alu instid0(VALU_DEP_1)
	v_add_nc_u32_e32 v2, v5, v2
	s_branch .LBB10_276
.LBB10_275:                             ;   in Loop: Header=BB10_276 Depth=1
	s_or_b32 exec_lo, exec_lo, s18
	ds_bpermute_b32 v5, v17, v3
	v_and_b32_e32 v10, 0xff, v4
	v_cmp_gt_u64_e64 s18, s[36:37], v[2:3]
	v_subrev_nc_u32_e32 v8, 32, v8
	s_delay_alu instid0(VALU_DEP_3) | instskip(SKIP_2) | instid1(VALU_DEP_2)
	v_cmp_eq_u16_e32 vcc_lo, 2, v10
	v_and_b32_e32 v10, 1, v3
	v_and_or_b32 v11, vcc_lo, v18, 0x80000000
	v_cmp_eq_u32_e32 vcc_lo, 1, v10
	s_delay_alu instid0(VALU_DEP_2) | instskip(SKIP_3) | instid1(VALU_DEP_1)
	v_ctz_i32_b32_e32 v10, v11
	ds_bpermute_b32 v11, v17, v2
	s_waitcnt lgkmcnt(1)
	v_and_b32_e32 v5, 1, v5
	v_cndmask_b32_e64 v5, v5, 1, vcc_lo
	v_cmp_lt_u32_e32 vcc_lo, v16, v10
	s_delay_alu instid0(VALU_DEP_2) | instskip(SKIP_1) | instid1(VALU_DEP_2)
	v_and_b32_e32 v29, 0xffff, v5
	v_cndmask_b32_e32 v5, v3, v5, vcc_lo
	v_cndmask_b32_e32 v29, v3, v29, vcc_lo
	s_and_b32 vcc_lo, vcc_lo, s18
	s_delay_alu instid0(VALU_DEP_2)
	v_and_b32_e32 v31, 0xff, v5
	ds_bpermute_b32 v30, v19, v29
	s_waitcnt lgkmcnt(1)
	v_cndmask_b32_e32 v3, 0, v11, vcc_lo
	v_and_b32_e32 v11, 1, v5
	v_cmp_eq_u16_e64 s18, 0, v31
	s_delay_alu instid0(VALU_DEP_2) | instskip(SKIP_2) | instid1(VALU_DEP_1)
	v_cmp_eq_u32_e32 vcc_lo, 1, v11
	s_waitcnt lgkmcnt(0)
	v_and_b32_e32 v30, 1, v30
	v_cndmask_b32_e64 v11, v30, 1, vcc_lo
	v_cmp_gt_u32_e32 vcc_lo, v20, v10
	s_delay_alu instid0(VALU_DEP_2) | instskip(NEXT) | instid1(VALU_DEP_1)
	v_dual_cndmask_b32 v5, v11, v5 :: v_dual_and_b32 v30, 0xffff, v11
	v_dual_cndmask_b32 v11, v30, v29 :: v_dual_add_nc_u32 v2, v3, v2
	s_delay_alu instid0(VALU_DEP_2)
	v_and_b32_e32 v30, 1, v5
	ds_bpermute_b32 v3, v19, v2
	ds_bpermute_b32 v29, v21, v11
	s_waitcnt lgkmcnt(1)
	v_cndmask_b32_e64 v3, 0, v3, s18
	s_waitcnt lgkmcnt(0)
	v_and_b32_e32 v29, 1, v29
	s_delay_alu instid0(VALU_DEP_2) | instskip(SKIP_2) | instid1(VALU_DEP_4)
	v_cndmask_b32_e64 v3, v3, 0, vcc_lo
	v_cmp_eq_u32_e32 vcc_lo, 1, v30
	v_and_b32_e32 v30, 0xff, v5
	v_cndmask_b32_e64 v29, v29, 1, vcc_lo
	v_cmp_gt_u32_e32 vcc_lo, v22, v10
	v_add_nc_u32_e32 v2, v3, v2
	s_delay_alu instid0(VALU_DEP_4) | instskip(NEXT) | instid1(VALU_DEP_4)
	v_cmp_eq_u16_e64 s18, 0, v30
	v_and_b32_e32 v31, 0xffff, v29
	v_cndmask_b32_e32 v5, v29, v5, vcc_lo
	ds_bpermute_b32 v3, v21, v2
	v_dual_cndmask_b32 v11, v31, v11 :: v_dual_and_b32 v30, 1, v5
	v_and_b32_e32 v31, 0xff, v5
	ds_bpermute_b32 v29, v23, v11
	s_waitcnt lgkmcnt(1)
	v_cndmask_b32_e64 v3, 0, v3, s18
	s_delay_alu instid0(VALU_DEP_1) | instskip(SKIP_3) | instid1(VALU_DEP_1)
	v_cndmask_b32_e64 v3, v3, 0, vcc_lo
	v_cmp_eq_u32_e32 vcc_lo, 1, v30
	s_waitcnt lgkmcnt(0)
	v_and_b32_e32 v29, 1, v29
	v_cndmask_b32_e64 v29, v29, 1, vcc_lo
	v_add_nc_u32_e32 v2, v3, v2
	v_cmp_eq_u16_e32 vcc_lo, 0, v31
	s_delay_alu instid0(VALU_DEP_3)
	v_and_b32_e32 v30, 0xffff, v29
	ds_bpermute_b32 v3, v23, v2
	s_waitcnt lgkmcnt(0)
	v_cndmask_b32_e32 v3, 0, v3, vcc_lo
	v_cmp_gt_u32_e32 vcc_lo, v24, v10
	v_cndmask_b32_e32 v5, v29, v5, vcc_lo
	s_delay_alu instid0(VALU_DEP_3) | instskip(SKIP_1) | instid1(VALU_DEP_3)
	v_cndmask_b32_e64 v3, v3, 0, vcc_lo
	v_cndmask_b32_e32 v11, v30, v11, vcc_lo
	v_and_b32_e32 v29, 1, v5
	s_delay_alu instid0(VALU_DEP_3)
	v_add_nc_u32_e32 v2, v3, v2
	ds_bpermute_b32 v3, v27, v11
	v_and_b32_e32 v30, 0xff, v5
	v_cmp_eq_u32_e32 vcc_lo, 1, v29
	ds_bpermute_b32 v11, v27, v2
	s_waitcnt lgkmcnt(1)
	v_cndmask_b32_e64 v3, v3, 1, vcc_lo
	v_cmp_eq_u16_e32 vcc_lo, 0, v30
	s_waitcnt lgkmcnt(0)
	v_cndmask_b32_e32 v11, 0, v11, vcc_lo
	v_cmp_gt_u32_e32 vcc_lo, v28, v10
	v_and_b32_e32 v10, 0xff, v25
	v_cndmask_b32_e32 v3, v3, v5, vcc_lo
	s_delay_alu instid0(VALU_DEP_4) | instskip(NEXT) | instid1(VALU_DEP_3)
	v_cndmask_b32_e64 v5, v11, 0, vcc_lo
	v_cmp_eq_u16_e32 vcc_lo, 0, v10
	s_delay_alu instid0(VALU_DEP_2) | instskip(SKIP_1) | instid1(VALU_DEP_2)
	v_add_nc_u32_e32 v2, v5, v2
	v_and_b32_e32 v5, 1, v25
	v_dual_cndmask_b32 v2, 0, v2 :: v_dual_and_b32 v3, 1, v3
	s_delay_alu instid0(VALU_DEP_2) | instskip(NEXT) | instid1(VALU_DEP_2)
	v_cmp_eq_u32_e32 vcc_lo, 1, v5
	v_add_nc_u32_e32 v2, v2, v26
	s_delay_alu instid0(VALU_DEP_3)
	v_cndmask_b32_e64 v3, v3, 1, vcc_lo
.LBB10_276:                             ; =>This Loop Header: Depth=1
                                        ;     Child Loop BB10_279 Depth 2
	s_delay_alu instid0(VALU_DEP_1) | instskip(NEXT) | instid1(VALU_DEP_2)
	v_dual_mov_b32 v25, v3 :: v_dual_and_b32 v4, 0xff, v4
	v_mov_b32_e32 v26, v2
	s_delay_alu instid0(VALU_DEP_2) | instskip(SKIP_2) | instid1(VALU_DEP_1)
	v_cmp_ne_u16_e32 vcc_lo, 2, v4
	v_cndmask_b32_e64 v4, 0, 1, vcc_lo
	;;#ASMSTART
	;;#ASMEND
	v_cmp_ne_u32_e32 vcc_lo, 0, v4
	s_cmp_lg_u32 vcc_lo, exec_lo
	s_cbranch_scc1 .LBB10_281
; %bb.277:                              ;   in Loop: Header=BB10_276 Depth=1
	v_lshlrev_b64 v[2:3], 4, v[8:9]
	s_mov_b32 s18, exec_lo
	s_delay_alu instid0(VALU_DEP_1) | instskip(NEXT) | instid1(VALU_DEP_2)
	v_add_co_u32 v10, vcc_lo, s28, v2
	v_add_co_ci_u32_e32 v11, vcc_lo, s29, v3, vcc_lo
	;;#ASMSTART
	global_load_dwordx4 v[2:5], v[10:11] off glc	
s_waitcnt vmcnt(0)
	;;#ASMEND
	v_and_b32_e32 v5, 0xffff, v2
	v_and_b32_e32 v29, 0xff0000, v2
	;; [unrolled: 1-line block ×4, first 2 shown]
	s_delay_alu instid0(VALU_DEP_3) | instskip(SKIP_1) | instid1(VALU_DEP_3)
	v_or_b32_e32 v5, v5, v29
	v_and_b32_e32 v29, 0xff, v4
	v_or3_b32 v3, 0, 0, v3
	s_delay_alu instid0(VALU_DEP_3) | instskip(NEXT) | instid1(VALU_DEP_3)
	v_or3_b32 v2, v5, v2, 0
	v_cmpx_eq_u16_e32 0, v29
	s_cbranch_execz .LBB10_275
; %bb.278:                              ;   in Loop: Header=BB10_276 Depth=1
	s_mov_b32 s19, 0
.LBB10_279:                             ;   Parent Loop BB10_276 Depth=1
                                        ; =>  This Inner Loop Header: Depth=2
	;;#ASMSTART
	global_load_dwordx4 v[2:5], v[10:11] off glc	
s_waitcnt vmcnt(0)
	;;#ASMEND
	v_and_b32_e32 v5, 0xff, v4
	s_delay_alu instid0(VALU_DEP_1) | instskip(SKIP_1) | instid1(SALU_CYCLE_1)
	v_cmp_ne_u16_e32 vcc_lo, 0, v5
	s_or_b32 s19, vcc_lo, s19
	s_and_not1_b32 exec_lo, exec_lo, s19
	s_cbranch_execnz .LBB10_279
; %bb.280:                              ;   in Loop: Header=BB10_276 Depth=1
	s_or_b32 exec_lo, exec_lo, s19
	v_and_b32_e32 v3, 0xff, v3
	s_branch .LBB10_275
.LBB10_281:                             ;   in Loop: Header=BB10_276 Depth=1
                                        ; implicit-def: $vgpr3
                                        ; implicit-def: $vgpr2
                                        ; implicit-def: $vgpr4
	s_cbranch_execz .LBB10_276
; %bb.282:
	s_and_saveexec_b32 s18, s17
	s_cbranch_execz .LBB10_284
; %bb.283:
	s_and_b32 s17, s33, 0xff
	s_mov_b32 s37, 0
	s_cmp_eq_u32 s17, 0
	v_and_b32_e32 v3, 1, v25
	s_cselect_b32 vcc_lo, -1, 0
	s_bitcmp1_b32 s33, 0
	v_cndmask_b32_e32 v2, 0, v26, vcc_lo
	s_cselect_b32 s17, -1, 0
	s_add_i32 s36, s15, 32
	v_mov_b32_e32 v4, 0
	s_lshl_b64 s[36:37], s[36:37], 4
	v_add_nc_u32_e32 v1, v2, v1
	s_add_u32 s36, s28, s36
	s_addc_u32 s37, s29, s37
	v_cndmask_b32_e64 v2, v3, 1, s17
	v_dual_mov_b32 v3, 2 :: v_dual_mov_b32 v8, s36
	v_mov_b32_e32 v9, s37
	;;#ASMSTART
	global_store_dwordx4 v[8:9], v[1:4] off	
s_waitcnt vmcnt(0)
	;;#ASMEND
.LBB10_284:
	s_or_b32 exec_lo, exec_lo, s18
	s_delay_alu instid0(SALU_CYCLE_1)
	s_and_b32 exec_lo, exec_lo, s16
	s_cbranch_execz .LBB10_286
; %bb.285:
	v_mov_b32_e32 v1, 0
	ds_store_b32 v1, v26
	ds_store_b8 v1, v25 offset:4
.LBB10_286:
	s_or_b32 exec_lo, exec_lo, s31
	v_dual_mov_b32 v1, 0 :: v_dual_and_b32 v2, 1, v36
	s_waitcnt lgkmcnt(0)
	v_and_b32_e32 v3, 1, v15
	s_barrier
	buffer_gl0_inv
	v_cmp_eq_u32_e32 vcc_lo, 1, v2
	ds_load_b32 v1, v1
	s_mov_b32 s19, 1
	s_mov_b32 s18, 0
	v_cndmask_b32_e64 v2, v3, 1, vcc_lo
	v_cmp_gt_u64_e32 vcc_lo, s[18:19], v[35:36]
	s_delay_alu instid0(VALU_DEP_2) | instskip(SKIP_1) | instid1(VALU_DEP_2)
	v_cndmask_b32_e64 v2, v2, v36, s16
	v_cndmask_b32_e32 v3, 0, v14, vcc_lo
	v_and_b32_e32 v2, 0xff, v2
	s_delay_alu instid0(VALU_DEP_2) | instskip(NEXT) | instid1(VALU_DEP_2)
	v_cndmask_b32_e64 v3, v3, 0, s16
	v_cmp_eq_u16_e32 vcc_lo, 0, v2
	s_waitcnt lgkmcnt(0)
	v_cndmask_b32_e32 v1, 0, v1, vcc_lo
	s_delay_alu instid0(VALU_DEP_1) | instskip(NEXT) | instid1(VALU_DEP_1)
	v_add3_u32 v23, v3, v35, v1
	v_cndmask_b32_e64 v1, 0, v23, s0
	s_delay_alu instid0(VALU_DEP_1) | instskip(NEXT) | instid1(VALU_DEP_1)
	v_add_nc_u32_e32 v4, v1, v37
	v_cndmask_b32_e64 v1, 0, v4, s1
	s_delay_alu instid0(VALU_DEP_1) | instskip(NEXT) | instid1(VALU_DEP_1)
	v_add_nc_u32_e32 v5, v1, v39
	;; [unrolled: 3-line block ×14, first 2 shown]
	v_cndmask_b32_e64 v1, 0, v21, s14
	s_delay_alu instid0(VALU_DEP_1)
	v_add_nc_u32_e32 v22, v1, v6
	s_branch .LBB10_305
.LBB10_287:
                                        ; implicit-def: $vgpr23
                                        ; implicit-def: $vgpr4
                                        ; implicit-def: $vgpr5
                                        ; implicit-def: $vgpr8
                                        ; implicit-def: $vgpr9
                                        ; implicit-def: $vgpr10
                                        ; implicit-def: $vgpr11
                                        ; implicit-def: $vgpr14
                                        ; implicit-def: $vgpr15
                                        ; implicit-def: $vgpr16
                                        ; implicit-def: $vgpr17
                                        ; implicit-def: $vgpr18
                                        ; implicit-def: $vgpr19
                                        ; implicit-def: $vgpr20
                                        ; implicit-def: $vgpr21
                                        ; implicit-def: $vgpr22
	s_cbranch_execz .LBB10_305
; %bb.288:
	s_cmp_lg_u64 s[44:45], 0
	v_cmp_eq_u32_e32 vcc_lo, 0, v0
	s_cselect_b32 s3, s23, 0
	s_cselect_b32 s2, s22, 0
	v_cmp_ne_u32_e64 s0, 0, v0
	s_cmp_lg_u64 s[2:3], 0
	s_mov_b32 s16, 0
	s_cselect_b32 s1, -1, 0
	s_delay_alu instid0(SALU_CYCLE_1) | instskip(NEXT) | instid1(SALU_CYCLE_1)
	s_and_b32 s1, vcc_lo, s1
	s_and_saveexec_b32 s4, s1
	s_cbranch_execz .LBB10_290
; %bb.289:
	v_mov_b32_e32 v1, 0
	s_mov_b32 s17, 1
	s_clause 0x1
	global_load_b32 v2, v1, s[2:3]
	global_load_u8 v3, v1, s[2:3] offset:4
	v_cmp_gt_u64_e64 s1, s[16:17], v[35:36]
	s_waitcnt vmcnt(1)
	s_delay_alu instid0(VALU_DEP_1) | instskip(SKIP_3) | instid1(VALU_DEP_3)
	v_cndmask_b32_e64 v4, 0, v2, s1
	v_and_b32_e32 v2, 1, v36
	s_waitcnt vmcnt(0)
	v_and_b32_e32 v3, 1, v3
	v_add_nc_u32_e32 v35, v4, v35
	s_delay_alu instid0(VALU_DEP_3) | instskip(NEXT) | instid1(VALU_DEP_1)
	v_cmp_eq_u64_e64 s1, 0, v[1:2]
	v_cndmask_b32_e64 v36, 1, v3, s1
.LBB10_290:
	s_or_b32 exec_lo, exec_lo, s4
	s_mov_b32 s17, 1
	v_or3_b32 v2, v13, v60, v58
	v_cmp_gt_u64_e64 s1, s[16:17], v[37:38]
	v_cmp_gt_u64_e64 s2, s[16:17], v[39:40]
	;; [unrolled: 1-line block ×6, first 2 shown]
	v_cndmask_b32_e64 v1, 0, v35, s1
	v_cmp_gt_u64_e64 s7, s[16:17], v[49:50]
	v_cmp_gt_u64_e64 s8, s[16:17], v[51:52]
	;; [unrolled: 1-line block ×4, first 2 shown]
	v_add_nc_u32_e32 v4, v1, v37
	v_cmp_gt_u64_e64 s11, s[16:17], v[57:58]
	v_cmp_gt_u64_e64 s12, s[16:17], v[59:60]
	;; [unrolled: 1-line block ×4, first 2 shown]
	v_cndmask_b32_e64 v1, 0, v4, s2
	v_cmp_gt_u64_e64 s15, s[16:17], v[6:7]
	v_add_lshl_u32 v3, v12, v0, 3
	s_mov_b32 s17, exec_lo
	s_delay_alu instid0(VALU_DEP_3) | instskip(NEXT) | instid1(VALU_DEP_1)
	v_add_nc_u32_e32 v5, v1, v39
	v_cndmask_b32_e64 v1, 0, v5, s3
	s_delay_alu instid0(VALU_DEP_1) | instskip(NEXT) | instid1(VALU_DEP_1)
	v_add_nc_u32_e32 v8, v1, v41
	v_cndmask_b32_e64 v1, 0, v8, s4
	s_delay_alu instid0(VALU_DEP_1) | instskip(NEXT) | instid1(VALU_DEP_1)
	;; [unrolled: 3-line block ×9, first 2 shown]
	v_add_nc_u32_e32 v18, v1, v57
	v_cndmask_b32_e64 v1, 0, v18, s12
	s_delay_alu instid0(VALU_DEP_1) | instskip(SKIP_1) | instid1(VALU_DEP_2)
	v_add_nc_u32_e32 v19, v1, v59
	v_or3_b32 v1, v2, v56, v54
	v_cndmask_b32_e64 v2, 0, v19, s13
	s_delay_alu instid0(VALU_DEP_2) | instskip(NEXT) | instid1(VALU_DEP_2)
	v_or3_b32 v1, v1, v52, v50
	v_add_nc_u32_e32 v20, v2, v61
	s_delay_alu instid0(VALU_DEP_2) | instskip(NEXT) | instid1(VALU_DEP_2)
	v_or3_b32 v1, v1, v48, v46
	v_cndmask_b32_e64 v2, 0, v20, s14
	s_delay_alu instid0(VALU_DEP_2) | instskip(NEXT) | instid1(VALU_DEP_2)
	v_or3_b32 v1, v1, v44, v42
	v_add_nc_u32_e32 v21, v2, v63
	s_delay_alu instid0(VALU_DEP_2) | instskip(NEXT) | instid1(VALU_DEP_2)
	v_or3_b32 v1, v1, v40, v38
	v_cndmask_b32_e64 v2, 0, v21, s15
	s_delay_alu instid0(VALU_DEP_2) | instskip(NEXT) | instid1(VALU_DEP_2)
	v_and_b32_e32 v1, 1, v1
	v_add_nc_u32_e32 v22, v2, v6
	s_delay_alu instid0(VALU_DEP_2) | instskip(NEXT) | instid1(VALU_DEP_1)
	v_cmp_eq_u32_e64 s16, 1, v1
	v_cndmask_b32_e64 v7, v36, 1, s16
	ds_store_b32 v3, v22
	ds_store_b8 v3, v7 offset:4
	s_waitcnt lgkmcnt(0)
	s_barrier
	buffer_gl0_inv
	v_cmpx_gt_u32_e32 32, v0
	s_cbranch_execz .LBB10_300
; %bb.291:
	v_lshlrev_b32_e32 v1, 1, v0
	s_mov_b32 s18, exec_lo
	s_delay_alu instid0(VALU_DEP_1) | instskip(NEXT) | instid1(VALU_DEP_1)
	v_and_b32_e32 v1, 0x1f8, v1
	v_lshl_or_b32 v3, v0, 6, v1
	ds_load_u8 v13, v3 offset:12
	ds_load_b64 v[1:2], v3
	ds_load_u8 v27, v3 offset:20
	ds_load_2addr_b32 v[23:24], v3 offset0:2 offset1:4
	ds_load_u8 v28, v3 offset:28
	ds_load_u8 v29, v3 offset:36
	;; [unrolled: 1-line block ×4, first 2 shown]
	ds_load_b32 v32, v3 offset:56
	ds_load_u8 v33, v3 offset:60
	s_waitcnt lgkmcnt(9)
	v_and_b32_e32 v25, 0xff, v13
	s_waitcnt lgkmcnt(7)
	v_and_b32_e32 v38, 0xff, v27
	s_delay_alu instid0(VALU_DEP_2)
	v_cmp_eq_u16_e64 s16, 0, v25
	ds_load_2addr_b32 v[25:26], v3 offset0:6 offset1:8
	s_waitcnt lgkmcnt(5)
	v_and_b32_e32 v40, 0xff, v29
	v_cndmask_b32_e64 v34, 0, v1, s16
	v_cmp_eq_u16_e64 s16, 0, v38
	s_delay_alu instid0(VALU_DEP_2) | instskip(SKIP_1) | instid1(VALU_DEP_2)
	v_add_nc_u32_e32 v23, v34, v23
	v_and_b32_e32 v34, 0xff, v28
	v_cndmask_b32_e64 v23, 0, v23, s16
	s_delay_alu instid0(VALU_DEP_2) | instskip(NEXT) | instid1(VALU_DEP_2)
	v_cmp_eq_u16_e64 s16, 0, v34
	v_add_nc_u32_e32 v23, v23, v24
	s_waitcnt lgkmcnt(1)
	v_or_b32_e32 v24, v33, v31
	s_delay_alu instid0(VALU_DEP_2) | instskip(NEXT) | instid1(VALU_DEP_2)
	v_cndmask_b32_e64 v34, 0, v23, s16
	v_or_b32_e32 v38, v24, v30
	ds_load_2addr_b32 v[23:24], v3 offset0:10 offset1:12
	v_cmp_eq_u16_e64 s16, 0, v40
	s_waitcnt lgkmcnt(1)
	v_add_nc_u32_e32 v25, v34, v25
	v_or_b32_e32 v29, v38, v29
	s_delay_alu instid0(VALU_DEP_2) | instskip(NEXT) | instid1(VALU_DEP_2)
	v_cndmask_b32_e64 v25, 0, v25, s16
	v_or_b32_e32 v28, v29, v28
	v_and_b32_e32 v29, 0xff, v30
	s_delay_alu instid0(VALU_DEP_3) | instskip(NEXT) | instid1(VALU_DEP_3)
	v_add_nc_u32_e32 v25, v25, v26
	v_or_b32_e32 v26, v28, v27
	s_delay_alu instid0(VALU_DEP_3) | instskip(NEXT) | instid1(VALU_DEP_2)
	v_cmp_eq_u16_e64 s16, 0, v29
	v_or_b32_e32 v13, v26, v13
	s_delay_alu instid0(VALU_DEP_2) | instskip(SKIP_2) | instid1(VALU_DEP_2)
	v_cndmask_b32_e64 v25, 0, v25, s16
	v_and_b32_e32 v26, 0xff, v31
	s_waitcnt lgkmcnt(0)
	v_add_nc_u32_e32 v23, v25, v23
	v_and_b32_e32 v25, 1, v13
	s_delay_alu instid0(VALU_DEP_3) | instskip(SKIP_1) | instid1(VALU_DEP_2)
	v_cmp_eq_u16_e64 s16, 0, v26
	v_and_b32_e32 v13, 1, v2
	v_cndmask_b32_e64 v23, 0, v23, s16
	s_delay_alu instid0(VALU_DEP_4) | instskip(SKIP_1) | instid1(VALU_DEP_3)
	v_cmp_eq_u32_e64 s16, 1, v25
	v_mbcnt_lo_u32_b32 v25, -1, 0
	v_add_nc_u32_e32 v24, v23, v24
	s_delay_alu instid0(VALU_DEP_3) | instskip(SKIP_2) | instid1(VALU_DEP_3)
	v_cndmask_b32_e64 v26, v13, 1, s16
	v_cmp_eq_u16_e64 s16, 0, v33
	v_and_b32_e32 v23, 0xffffff00, v2
	v_and_b32_e32 v27, 0xffff, v26
	s_delay_alu instid0(VALU_DEP_3) | instskip(NEXT) | instid1(VALU_DEP_2)
	v_cndmask_b32_e64 v24, 0, v24, s16
	v_or_b32_e32 v28, v23, v27
	s_delay_alu instid0(VALU_DEP_2) | instskip(SKIP_1) | instid1(VALU_DEP_3)
	v_add_nc_u32_e32 v24, v24, v32
	v_and_b32_e32 v27, 15, v25
	v_mov_b32_dpp v30, v28 row_shr:1 row_mask:0xf bank_mask:0xf
	s_delay_alu instid0(VALU_DEP_3) | instskip(NEXT) | instid1(VALU_DEP_3)
	v_mov_b32_dpp v29, v24 row_shr:1 row_mask:0xf bank_mask:0xf
	v_cmpx_ne_u32_e32 0, v27
; %bb.292:
	v_and_b32_e32 v28, 1, v26
	s_delay_alu instid0(VALU_DEP_4) | instskip(NEXT) | instid1(VALU_DEP_2)
	v_and_b32_e32 v30, 1, v30
	v_cmp_eq_u32_e64 s16, 1, v28
	s_delay_alu instid0(VALU_DEP_1) | instskip(SKIP_1) | instid1(VALU_DEP_2)
	v_cndmask_b32_e64 v30, v30, 1, s16
	v_cmp_eq_u16_e64 s16, 0, v26
	v_and_b32_e32 v28, 0xffff, v30
	s_delay_alu instid0(VALU_DEP_2) | instskip(NEXT) | instid1(VALU_DEP_2)
	v_cndmask_b32_e64 v26, 0, v29, s16
	v_or_b32_e32 v28, v23, v28
	s_delay_alu instid0(VALU_DEP_2)
	v_add_nc_u32_e32 v24, v26, v24
	v_mov_b32_e32 v26, v30
; %bb.293:
	s_or_b32 exec_lo, exec_lo, s18
	s_delay_alu instid0(VALU_DEP_2)
	v_mov_b32_dpp v29, v24 row_shr:2 row_mask:0xf bank_mask:0xf
	v_mov_b32_dpp v30, v28 row_shr:2 row_mask:0xf bank_mask:0xf
	s_mov_b32 s18, exec_lo
	v_cmpx_lt_u32_e32 1, v27
; %bb.294:
	v_and_b32_e32 v28, 1, v26
	s_delay_alu instid0(VALU_DEP_3) | instskip(NEXT) | instid1(VALU_DEP_2)
	v_and_b32_e32 v30, 1, v30
	v_cmp_eq_u32_e64 s16, 1, v28
	s_delay_alu instid0(VALU_DEP_1) | instskip(SKIP_1) | instid1(VALU_DEP_2)
	v_cndmask_b32_e64 v30, v30, 1, s16
	v_cmp_eq_u16_e64 s16, 0, v26
	v_and_b32_e32 v28, 0xffff, v30
	s_delay_alu instid0(VALU_DEP_2) | instskip(NEXT) | instid1(VALU_DEP_2)
	v_cndmask_b32_e64 v26, 0, v29, s16
	v_or_b32_e32 v28, v23, v28
	s_delay_alu instid0(VALU_DEP_2)
	v_add_nc_u32_e32 v24, v26, v24
	v_mov_b32_e32 v26, v30
; %bb.295:
	s_or_b32 exec_lo, exec_lo, s18
	s_delay_alu instid0(VALU_DEP_2)
	v_mov_b32_dpp v29, v24 row_shr:4 row_mask:0xf bank_mask:0xf
	v_mov_b32_dpp v30, v28 row_shr:4 row_mask:0xf bank_mask:0xf
	s_mov_b32 s18, exec_lo
	v_cmpx_lt_u32_e32 3, v27
; %bb.296:
	v_and_b32_e32 v28, 1, v26
	s_delay_alu instid0(VALU_DEP_3) | instskip(NEXT) | instid1(VALU_DEP_2)
	v_and_b32_e32 v30, 1, v30
	v_cmp_eq_u32_e64 s16, 1, v28
	s_delay_alu instid0(VALU_DEP_1) | instskip(SKIP_1) | instid1(VALU_DEP_2)
	v_cndmask_b32_e64 v30, v30, 1, s16
	v_cmp_eq_u16_e64 s16, 0, v26
	v_and_b32_e32 v28, 0xffff, v30
	s_delay_alu instid0(VALU_DEP_2) | instskip(NEXT) | instid1(VALU_DEP_2)
	v_cndmask_b32_e64 v26, 0, v29, s16
	v_or_b32_e32 v28, v23, v28
	s_delay_alu instid0(VALU_DEP_2)
	v_add_nc_u32_e32 v24, v26, v24
	v_mov_b32_e32 v26, v30
; %bb.297:
	s_or_b32 exec_lo, exec_lo, s18
	s_delay_alu instid0(VALU_DEP_2)
	v_mov_b32_dpp v29, v24 row_shr:8 row_mask:0xf bank_mask:0xf
	v_mov_b32_dpp v30, v28 row_shr:8 row_mask:0xf bank_mask:0xf
	s_mov_b32 s18, exec_lo
	v_cmpx_lt_u32_e32 7, v27
; %bb.298:
	v_and_b32_e32 v27, 1, v26
	s_delay_alu instid0(VALU_DEP_3) | instskip(NEXT) | instid1(VALU_DEP_2)
	v_and_b32_e32 v28, 1, v30
	v_cmp_eq_u32_e64 s16, 1, v27
	s_delay_alu instid0(VALU_DEP_1) | instskip(SKIP_1) | instid1(VALU_DEP_2)
	v_cndmask_b32_e64 v27, v28, 1, s16
	v_cmp_eq_u16_e64 s16, 0, v26
	v_and_b32_e32 v28, 0xffff, v27
	s_delay_alu instid0(VALU_DEP_2) | instskip(NEXT) | instid1(VALU_DEP_2)
	v_cndmask_b32_e64 v26, 0, v29, s16
	v_or_b32_e32 v28, v23, v28
	s_delay_alu instid0(VALU_DEP_2)
	v_add_nc_u32_e32 v24, v26, v24
	v_mov_b32_e32 v26, v27
; %bb.299:
	s_or_b32 exec_lo, exec_lo, s18
	ds_swizzle_b32 v27, v28 offset:swizzle(BROADCAST,32,15)
	ds_swizzle_b32 v28, v24 offset:swizzle(BROADCAST,32,15)
	v_and_b32_e32 v29, 1, v26
	v_and_b32_e32 v30, 16, v25
	v_bfe_i32 v31, v25, 4, 1
	v_and_b32_e32 v2, 0xff, v2
	s_delay_alu instid0(VALU_DEP_4) | instskip(SKIP_3) | instid1(VALU_DEP_1)
	v_cmp_eq_u32_e64 s16, 1, v29
	v_add_nc_u32_e32 v29, -1, v25
	; wave barrier
	s_waitcnt lgkmcnt(1)
	v_and_b32_e32 v27, 1, v27
	v_cndmask_b32_e64 v27, v27, 1, s16
	v_cmp_eq_u16_e64 s16, 0, v26
	s_waitcnt lgkmcnt(0)
	s_delay_alu instid0(VALU_DEP_1) | instskip(SKIP_1) | instid1(VALU_DEP_1)
	v_cndmask_b32_e64 v28, 0, v28, s16
	v_cmp_eq_u32_e64 s16, 0, v30
	v_cndmask_b32_e64 v26, v27, v26, s16
	v_cmp_gt_i32_e64 s16, 0, v29
	s_delay_alu instid0(VALU_DEP_4) | instskip(NEXT) | instid1(VALU_DEP_3)
	v_and_b32_e32 v27, v31, v28
	v_and_b32_e32 v26, 0xffff, v26
	s_delay_alu instid0(VALU_DEP_3) | instskip(NEXT) | instid1(VALU_DEP_3)
	v_cndmask_b32_e64 v25, v29, v25, s16
	v_add_nc_u32_e32 v24, v27, v24
	v_cmp_eq_u16_e64 s16, 0, v2
	s_delay_alu instid0(VALU_DEP_4) | instskip(NEXT) | instid1(VALU_DEP_4)
	v_or_b32_e32 v23, v23, v26
	v_lshlrev_b32_e32 v25, 2, v25
	ds_bpermute_b32 v24, v25, v24
	ds_bpermute_b32 v23, v25, v23
	s_waitcnt lgkmcnt(1)
	v_cndmask_b32_e64 v2, 0, v24, s16
	s_waitcnt lgkmcnt(0)
	v_and_b32_e32 v23, 1, v23
	v_cmp_eq_u32_e64 s16, 1, v13
	s_delay_alu instid0(VALU_DEP_3) | instskip(NEXT) | instid1(VALU_DEP_2)
	v_add_nc_u32_e32 v1, v2, v1
	v_cndmask_b32_e64 v2, v23, 1, s16
	s_delay_alu instid0(VALU_DEP_2) | instskip(NEXT) | instid1(VALU_DEP_2)
	v_cndmask_b32_e32 v13, v1, v22, vcc_lo
	v_cndmask_b32_e32 v7, v2, v7, vcc_lo
	ds_store_b32 v3, v13
	ds_store_b8 v3, v7 offset:4
	; wave barrier
	ds_load_u8 v25, v3 offset:12
	ds_load_2addr_b32 v[1:2], v3 offset0:2 offset1:4
	ds_load_u8 v26, v3 offset:20
	ds_load_u8 v27, v3 offset:28
	;; [unrolled: 1-line block ×5, first 2 shown]
	ds_load_b32 v31, v3 offset:56
	ds_load_u8 v32, v3 offset:60
	ds_load_2addr_b32 v[23:24], v3 offset0:6 offset1:8
	s_waitcnt lgkmcnt(9)
	v_cmp_eq_u16_e64 s16, 0, v25
	v_and_b32_e32 v25, 1, v25
	s_delay_alu instid0(VALU_DEP_2) | instskip(SKIP_3) | instid1(VALU_DEP_3)
	v_cndmask_b32_e64 v13, 0, v13, s16
	s_waitcnt lgkmcnt(7)
	v_cmp_eq_u16_e64 s16, 0, v26
	v_and_b32_e32 v26, 1, v26
	v_add_nc_u32_e32 v13, v13, v1
	s_delay_alu instid0(VALU_DEP_1) | instskip(SKIP_2) | instid1(VALU_DEP_2)
	v_cndmask_b32_e64 v1, 0, v13, s16
	s_waitcnt lgkmcnt(6)
	v_cmp_eq_u16_e64 s16, 0, v27
	v_add_nc_u32_e32 v33, v1, v2
	ds_load_2addr_b32 v[1:2], v3 offset0:10 offset1:12
	v_cndmask_b32_e64 v34, 0, v33, s16
	s_waitcnt lgkmcnt(6)
	v_cmp_eq_u16_e64 s16, 0, v28
	ds_store_2addr_b32 v3, v13, v33 offset0:2 offset1:4
	s_waitcnt lgkmcnt(2)
	v_add_nc_u32_e32 v23, v34, v23
	s_delay_alu instid0(VALU_DEP_1) | instskip(SKIP_3) | instid1(VALU_DEP_4)
	v_cndmask_b32_e64 v34, 0, v23, s16
	v_cmp_eq_u32_e64 s16, 1, v25
	v_and_b32_e32 v25, 1, v27
	v_and_b32_e32 v27, 1, v28
	v_add_nc_u32_e32 v24, v34, v24
	s_delay_alu instid0(VALU_DEP_4) | instskip(SKIP_2) | instid1(VALU_DEP_2)
	v_cndmask_b32_e64 v7, v7, 1, s16
	v_cmp_eq_u32_e64 s16, 1, v26
	v_and_b32_e32 v34, 1, v32
	v_cndmask_b32_e64 v26, v7, 1, s16
	v_cmp_eq_u16_e64 s16, 0, v29
	v_and_b32_e32 v29, 1, v29
	s_delay_alu instid0(VALU_DEP_2) | instskip(SKIP_2) | instid1(VALU_DEP_2)
	v_cndmask_b32_e64 v28, 0, v24, s16
	v_cmp_eq_u32_e64 s16, 1, v25
	s_waitcnt lgkmcnt(1)
	v_add_nc_u32_e32 v1, v28, v1
	s_delay_alu instid0(VALU_DEP_2) | instskip(SKIP_2) | instid1(VALU_DEP_2)
	v_cndmask_b32_e64 v25, v26, 1, s16
	v_cmp_eq_u32_e64 s16, 1, v27
	v_and_b32_e32 v28, 1, v30
	v_cndmask_b32_e64 v27, v25, 1, s16
	v_cmp_eq_u16_e64 s16, 0, v30
	s_delay_alu instid0(VALU_DEP_1) | instskip(SKIP_1) | instid1(VALU_DEP_2)
	v_cndmask_b32_e64 v30, 0, v1, s16
	v_cmp_eq_u32_e64 s16, 1, v29
	v_add_nc_u32_e32 v2, v30, v2
	s_delay_alu instid0(VALU_DEP_2)
	v_cndmask_b32_e64 v29, v27, 1, s16
	v_cmp_eq_u32_e64 s16, 1, v28
	ds_store_2addr_b32 v3, v23, v24 offset0:6 offset1:8
	ds_store_2addr_b32 v3, v1, v2 offset0:10 offset1:12
	v_cndmask_b32_e64 v28, v29, 1, s16
	v_cmp_eq_u16_e64 s16, 0, v32
	s_delay_alu instid0(VALU_DEP_1) | instskip(SKIP_1) | instid1(VALU_DEP_2)
	v_cndmask_b32_e64 v13, 0, v2, s16
	v_cmp_eq_u32_e64 s16, 1, v34
	v_add_nc_u32_e32 v1, v13, v31
	s_delay_alu instid0(VALU_DEP_2)
	v_cndmask_b32_e64 v30, v28, 1, s16
	ds_store_b8 v3, v7 offset:12
	ds_store_b8 v3, v26 offset:20
	;; [unrolled: 1-line block ×6, first 2 shown]
	ds_store_b32 v3, v1 offset:56
	ds_store_b8 v3, v30 offset:60
.LBB10_300:
	s_or_b32 exec_lo, exec_lo, s17
	v_mov_b32_e32 v1, v22
	s_waitcnt lgkmcnt(0)
	s_barrier
	buffer_gl0_inv
	s_and_saveexec_b32 s16, s0
	s_cbranch_execnz .LBB10_328
; %bb.301:
	s_or_b32 exec_lo, exec_lo, s16
	s_and_saveexec_b32 s16, s0
	s_cbranch_execnz .LBB10_329
.LBB10_302:
	s_or_b32 exec_lo, exec_lo, s16
	s_and_saveexec_b32 s0, vcc_lo
	s_cbranch_execz .LBB10_304
.LBB10_303:
	v_dual_mov_b32 v26, 0 :: v_dual_mov_b32 v25, 2
	s_add_u32 s2, s28, 0x200
	s_addc_u32 s3, s29, 0
	s_waitcnt lgkmcnt(0)
	v_dual_mov_b32 v1, s2 :: v_dual_mov_b32 v2, s3
	ds_load_b32 v23, v26 offset:2096
	ds_load_u8 v24, v26 offset:2100
	s_waitcnt lgkmcnt(0)
	;;#ASMSTART
	global_store_dwordx4 v[1:2], v[23:26] off	
s_waitcnt vmcnt(0)
	;;#ASMEND
.LBB10_304:
	s_or_b32 exec_lo, exec_lo, s0
	v_mov_b32_e32 v23, v35
.LBB10_305:
	s_add_u32 s0, s26, s34
	v_lshlrev_b32_e32 v37, 1, v0
	v_or_b32_e32 v36, 0x100, v0
	v_or_b32_e32 v35, 0x200, v0
	;; [unrolled: 1-line block ×15, first 2 shown]
	v_lshlrev_b32_e32 v6, 2, v0
	s_addc_u32 s1, s27, s35
	s_add_u32 s0, s0, s24
	s_addc_u32 s1, s1, s25
	s_and_b32 vcc_lo, exec_lo, s21
	s_cbranch_vccz .LBB10_323
; %bb.306:
	s_waitcnt lgkmcnt(0)
	v_and_b32_e32 v1, 0x1fc, v37
	s_barrier
	buffer_gl0_inv
	v_lshrrev_b32_e32 v2, 5, v35
	v_lshl_add_u32 v1, v0, 6, v1
	v_lshrrev_b32_e32 v3, 5, v34
	v_lshrrev_b32_e32 v38, 5, v33
	;; [unrolled: 1-line block ×4, first 2 shown]
	ds_store_2addr_b32 v1, v23, v4 offset1:1
	ds_store_2addr_b32 v1, v5, v8 offset0:2 offset1:3
	ds_store_2addr_b32 v1, v9, v10 offset0:4 offset1:5
	;; [unrolled: 1-line block ×7, first 2 shown]
	v_lshrrev_b32_e32 v1, 5, v36
	v_lshrrev_b32_e32 v41, 5, v30
	;; [unrolled: 1-line block ×3, first 2 shown]
	v_add_lshl_u32 v2, v2, v0, 2
	v_add_lshl_u32 v3, v3, v0, 2
	;; [unrolled: 1-line block ×4, first 2 shown]
	v_lshrrev_b32_e32 v43, 5, v28
	v_add_lshl_u32 v39, v39, v0, 2
	v_lshrrev_b32_e32 v45, 5, v27
	s_waitcnt lgkmcnt(0)
	s_barrier
	buffer_gl0_inv
	v_add_lshl_u32 v40, v40, v0, 2
	v_add_lshl_u32 v41, v41, v0, 2
	v_add_lshl_u32 v42, v42, v0, 2
	ds_load_b32 v52, v1 offset:1024
	ds_load_b32 v51, v2 offset:2048
	;; [unrolled: 1-line block ×8, first 2 shown]
	v_lshrrev_b32_e32 v3, 5, v26
	v_lshrrev_b32_e32 v38, 5, v25
	;; [unrolled: 1-line block ×3, first 2 shown]
	v_add_lshl_u32 v1, v43, v0, 2
	v_lshrrev_b32_e32 v40, 5, v13
	v_lshrrev_b32_e32 v41, 5, v7
	v_add_lshl_u32 v2, v45, v0, 2
	v_add_lshl_u32 v3, v3, v0, 2
	;; [unrolled: 1-line block ×6, first 2 shown]
	ds_load_b32 v45, v1 offset:9216
	ds_load_b32 v43, v2 offset:10240
	;; [unrolled: 1-line block ×7, first 2 shown]
	v_add_co_u32 v2, s3, s0, v6
	v_mov_b32_e32 v1, 0
	v_add_co_ci_u32_e64 v3, null, s1, 0, s3
	s_lshl_b32 s2, s20, 12
	s_mov_b32 s3, exec_lo
	s_sub_i32 s2, s30, s2
	s_delay_alu instid0(SALU_CYCLE_1)
	v_cmpx_gt_u32_e64 s2, v0
	s_cbranch_execnz .LBB10_330
; %bb.307:
	s_or_b32 exec_lo, exec_lo, s3
	s_delay_alu instid0(SALU_CYCLE_1)
	s_mov_b32 s3, exec_lo
	v_cmpx_gt_u32_e64 s2, v36
	s_cbranch_execnz .LBB10_331
.LBB10_308:
	s_or_b32 exec_lo, exec_lo, s3
	s_delay_alu instid0(SALU_CYCLE_1)
	s_mov_b32 s3, exec_lo
	v_cmpx_gt_u32_e64 s2, v35
	s_cbranch_execnz .LBB10_332
.LBB10_309:
	s_or_b32 exec_lo, exec_lo, s3
	s_delay_alu instid0(SALU_CYCLE_1)
	s_mov_b32 s3, exec_lo
	v_cmpx_gt_u32_e64 s2, v34
	s_cbranch_execnz .LBB10_333
.LBB10_310:
	s_or_b32 exec_lo, exec_lo, s3
	s_delay_alu instid0(SALU_CYCLE_1)
	s_mov_b32 s3, exec_lo
	v_cmpx_gt_u32_e64 s2, v33
	s_cbranch_execnz .LBB10_334
.LBB10_311:
	s_or_b32 exec_lo, exec_lo, s3
	s_delay_alu instid0(SALU_CYCLE_1)
	s_mov_b32 s3, exec_lo
	v_cmpx_gt_u32_e64 s2, v32
	s_cbranch_execnz .LBB10_335
.LBB10_312:
	s_or_b32 exec_lo, exec_lo, s3
	s_delay_alu instid0(SALU_CYCLE_1)
	s_mov_b32 s3, exec_lo
	v_cmpx_gt_u32_e64 s2, v31
	s_cbranch_execnz .LBB10_336
.LBB10_313:
	s_or_b32 exec_lo, exec_lo, s3
	s_delay_alu instid0(SALU_CYCLE_1)
	s_mov_b32 s3, exec_lo
	v_cmpx_gt_u32_e64 s2, v30
	s_cbranch_execnz .LBB10_337
.LBB10_314:
	s_or_b32 exec_lo, exec_lo, s3
	s_delay_alu instid0(SALU_CYCLE_1)
	s_mov_b32 s3, exec_lo
	v_cmpx_gt_u32_e64 s2, v29
	s_cbranch_execnz .LBB10_338
.LBB10_315:
	s_or_b32 exec_lo, exec_lo, s3
	s_delay_alu instid0(SALU_CYCLE_1)
	s_mov_b32 s3, exec_lo
	v_cmpx_gt_u32_e64 s2, v28
	s_cbranch_execnz .LBB10_339
.LBB10_316:
	s_or_b32 exec_lo, exec_lo, s3
	s_delay_alu instid0(SALU_CYCLE_1)
	s_mov_b32 s3, exec_lo
	v_cmpx_gt_u32_e64 s2, v27
	s_cbranch_execnz .LBB10_340
.LBB10_317:
	s_or_b32 exec_lo, exec_lo, s3
	s_delay_alu instid0(SALU_CYCLE_1)
	s_mov_b32 s3, exec_lo
	v_cmpx_gt_u32_e64 s2, v26
	s_cbranch_execnz .LBB10_341
.LBB10_318:
	s_or_b32 exec_lo, exec_lo, s3
	s_delay_alu instid0(SALU_CYCLE_1)
	s_mov_b32 s3, exec_lo
	v_cmpx_gt_u32_e64 s2, v25
	s_cbranch_execnz .LBB10_342
.LBB10_319:
	s_or_b32 exec_lo, exec_lo, s3
	s_delay_alu instid0(SALU_CYCLE_1)
	s_mov_b32 s3, exec_lo
	v_cmpx_gt_u32_e64 s2, v24
	s_cbranch_execnz .LBB10_343
.LBB10_320:
	s_or_b32 exec_lo, exec_lo, s3
	s_delay_alu instid0(SALU_CYCLE_1)
	s_mov_b32 s3, exec_lo
	v_cmpx_gt_u32_e64 s2, v13
	s_cbranch_execz .LBB10_322
.LBB10_321:
	v_add_co_u32 v2, vcc_lo, 0x3000, v2
	v_add_co_ci_u32_e32 v3, vcc_lo, 0, v3, vcc_lo
	s_waitcnt lgkmcnt(1)
	flat_store_b32 v[2:3], v39 offset:2048
.LBB10_322:
	s_or_b32 exec_lo, exec_lo, s3
	v_cmp_gt_u32_e64 s2, s2, v7
	s_branch .LBB10_325
.LBB10_323:
	s_mov_b32 s2, 0
                                        ; implicit-def: $vgpr38
	s_cbranch_execz .LBB10_325
; %bb.324:
	s_waitcnt lgkmcnt(0)
	v_and_b32_e32 v1, 0x1fc, v37
	s_waitcnt_vscnt null, 0x0
	s_barrier
	buffer_gl0_inv
	v_lshrrev_b32_e32 v2, 5, v35
	v_lshl_add_u32 v1, v0, 6, v1
	v_add_lshl_u32 v3, v12, v0, 2
	v_lshrrev_b32_e32 v12, 5, v28
	v_lshrrev_b32_e32 v7, 5, v7
	v_add_lshl_u32 v2, v2, v0, 2
	ds_store_2addr_b32 v1, v23, v4 offset1:1
	ds_store_2addr_b32 v1, v5, v8 offset0:2 offset1:3
	ds_store_2addr_b32 v1, v9, v10 offset0:4 offset1:5
	ds_store_2addr_b32 v1, v11, v14 offset0:6 offset1:7
	ds_store_2addr_b32 v1, v15, v16 offset0:8 offset1:9
	ds_store_2addr_b32 v1, v17, v18 offset0:10 offset1:11
	ds_store_2addr_b32 v1, v19, v20 offset0:12 offset1:13
	ds_store_2addr_b32 v1, v21, v22 offset0:14 offset1:15
	v_lshrrev_b32_e32 v1, 5, v36
	v_lshrrev_b32_e32 v4, 5, v34
	;; [unrolled: 1-line block ×6, first 2 shown]
	v_add_lshl_u32 v1, v1, v0, 2
	v_lshrrev_b32_e32 v11, 5, v29
	v_add_lshl_u32 v4, v4, v0, 2
	v_add_lshl_u32 v5, v5, v0, 2
	;; [unrolled: 1-line block ×5, first 2 shown]
	s_waitcnt lgkmcnt(0)
	s_barrier
	buffer_gl0_inv
	v_lshrrev_b32_e32 v14, 5, v27
	ds_load_b32 v15, v3
	ds_load_b32 v16, v1 offset:1024
	ds_load_b32 v17, v2 offset:2048
	;; [unrolled: 1-line block ×7, first 2 shown]
	v_lshrrev_b32_e32 v4, 5, v26
	v_add_lshl_u32 v1, v11, v0, 2
	v_add_lshl_u32 v2, v12, v0, 2
	v_lshrrev_b32_e32 v5, 5, v25
	v_lshrrev_b32_e32 v11, 5, v24
	;; [unrolled: 1-line block ×3, first 2 shown]
	v_add_lshl_u32 v3, v14, v0, 2
	v_add_lshl_u32 v4, v4, v0, 2
	;; [unrolled: 1-line block ×6, first 2 shown]
	ds_load_b32 v13, v1 offset:8192
	ds_load_b32 v14, v2 offset:9216
	ds_load_b32 v20, v3 offset:10240
	ds_load_b32 v21, v4 offset:11264
	ds_load_b32 v22, v5 offset:12288
	ds_load_b32 v11, v11 offset:13312
	ds_load_b32 v12, v12 offset:14336
	ds_load_b32 v38, v7 offset:15360
	v_add_co_u32 v2, s3, s0, v6
	s_delay_alu instid0(VALU_DEP_1) | instskip(SKIP_1) | instid1(VALU_DEP_3)
	v_add_co_ci_u32_e64 v3, null, s1, 0, s3
	v_mov_b32_e32 v1, 0
	v_add_co_u32 v4, vcc_lo, 0x1000, v2
	s_delay_alu instid0(VALU_DEP_3)
	v_add_co_ci_u32_e32 v5, vcc_lo, 0, v3, vcc_lo
	s_waitcnt lgkmcnt(15)
	flat_store_b32 v[2:3], v15
	s_waitcnt lgkmcnt(15)
	flat_store_b32 v[2:3], v16 offset:1024
	s_waitcnt lgkmcnt(15)
	flat_store_b32 v[2:3], v17 offset:2048
	;; [unrolled: 2-line block ×3, first 2 shown]
	s_waitcnt lgkmcnt(15)
	flat_store_b32 v[4:5], v19
	s_waitcnt lgkmcnt(15)
	flat_store_b32 v[4:5], v8 offset:1024
	s_waitcnt lgkmcnt(15)
	flat_store_b32 v[4:5], v9 offset:2048
	s_waitcnt lgkmcnt(15)
	flat_store_b32 v[4:5], v10 offset:3072
	v_add_co_u32 v4, vcc_lo, 0x2000, v2
	v_add_co_ci_u32_e32 v5, vcc_lo, 0, v3, vcc_lo
	v_add_co_u32 v2, vcc_lo, 0x3000, v2
	s_or_b32 s2, s2, exec_lo
	v_add_co_ci_u32_e32 v3, vcc_lo, 0, v3, vcc_lo
	s_waitcnt lgkmcnt(15)
	flat_store_b32 v[4:5], v13
	s_waitcnt lgkmcnt(15)
	flat_store_b32 v[4:5], v14 offset:1024
	s_waitcnt lgkmcnt(15)
	flat_store_b32 v[4:5], v20 offset:2048
	s_waitcnt lgkmcnt(15)
	flat_store_b32 v[4:5], v21 offset:3072
	s_waitcnt lgkmcnt(15)
	flat_store_b32 v[2:3], v22
	s_waitcnt lgkmcnt(15)
	flat_store_b32 v[2:3], v11 offset:1024
	s_waitcnt lgkmcnt(15)
	flat_store_b32 v[2:3], v12 offset:2048
.LBB10_325:
	s_delay_alu instid0(VALU_DEP_1)
	s_and_saveexec_b32 s3, s2
	s_cbranch_execnz .LBB10_327
; %bb.326:
	s_endpgm
.LBB10_327:
	s_waitcnt lgkmcnt(0)
	v_lshlrev_b64 v[0:1], 2, v[0:1]
	s_delay_alu instid0(VALU_DEP_1) | instskip(NEXT) | instid1(VALU_DEP_2)
	v_add_co_u32 v0, vcc_lo, s0, v0
	v_add_co_ci_u32_e32 v1, vcc_lo, s1, v1, vcc_lo
	s_delay_alu instid0(VALU_DEP_2) | instskip(NEXT) | instid1(VALU_DEP_2)
	v_add_co_u32 v0, vcc_lo, 0x3000, v0
	v_add_co_ci_u32_e32 v1, vcc_lo, 0, v1, vcc_lo
	flat_store_b32 v[0:1], v38 offset:3072
	s_endpgm
.LBB10_328:
	v_add_nc_u32_e32 v1, -1, v0
	s_delay_alu instid0(VALU_DEP_1) | instskip(NEXT) | instid1(VALU_DEP_1)
	v_lshrrev_b32_e32 v2, 5, v1
	v_add_lshl_u32 v1, v2, v1, 3
	ds_load_b32 v1, v1
	s_or_b32 exec_lo, exec_lo, s16
	s_and_saveexec_b32 s16, s0
	s_cbranch_execz .LBB10_302
.LBB10_329:
	v_dual_mov_b32 v2, 0 :: v_dual_and_b32 v3, 0xff, v36
	;;#ASMSTART
	;;#ASMEND
	s_delay_alu instid0(VALU_DEP_1) | instskip(SKIP_1) | instid1(VALU_DEP_1)
	v_cmp_eq_u64_e64 s0, 0, v[2:3]
	s_waitcnt lgkmcnt(0)
	v_cndmask_b32_e64 v1, 0, v1, s0
	s_delay_alu instid0(VALU_DEP_1) | instskip(NEXT) | instid1(VALU_DEP_1)
	v_add_nc_u32_e32 v35, v1, v35
	v_cndmask_b32_e64 v1, 0, v35, s1
	s_delay_alu instid0(VALU_DEP_1) | instskip(NEXT) | instid1(VALU_DEP_1)
	v_add_nc_u32_e32 v4, v1, v37
	;; [unrolled: 3-line block ×15, first 2 shown]
	v_cndmask_b32_e64 v1, 0, v21, s15
	s_delay_alu instid0(VALU_DEP_1)
	v_add_nc_u32_e32 v22, v1, v6
	s_or_b32 exec_lo, exec_lo, s16
	s_and_saveexec_b32 s0, vcc_lo
	s_cbranch_execnz .LBB10_303
	s_branch .LBB10_304
.LBB10_330:
	v_add_lshl_u32 v53, v12, v0, 2
	ds_load_b32 v53, v53
	s_waitcnt lgkmcnt(0)
	flat_store_b32 v[2:3], v53
	s_or_b32 exec_lo, exec_lo, s3
	s_delay_alu instid0(SALU_CYCLE_1)
	s_mov_b32 s3, exec_lo
	v_cmpx_gt_u32_e64 s2, v36
	s_cbranch_execz .LBB10_308
.LBB10_331:
	s_waitcnt lgkmcnt(14)
	flat_store_b32 v[2:3], v52 offset:1024
	s_or_b32 exec_lo, exec_lo, s3
	s_delay_alu instid0(SALU_CYCLE_1)
	s_mov_b32 s3, exec_lo
	v_cmpx_gt_u32_e64 s2, v35
	s_cbranch_execz .LBB10_309
.LBB10_332:
	s_waitcnt lgkmcnt(13)
	flat_store_b32 v[2:3], v51 offset:2048
	s_or_b32 exec_lo, exec_lo, s3
	s_delay_alu instid0(SALU_CYCLE_1)
	s_mov_b32 s3, exec_lo
	v_cmpx_gt_u32_e64 s2, v34
	s_cbranch_execz .LBB10_310
.LBB10_333:
	s_waitcnt lgkmcnt(12)
	flat_store_b32 v[2:3], v50 offset:3072
	s_or_b32 exec_lo, exec_lo, s3
	s_delay_alu instid0(SALU_CYCLE_1)
	s_mov_b32 s3, exec_lo
	v_cmpx_gt_u32_e64 s2, v33
	s_cbranch_execz .LBB10_311
.LBB10_334:
	s_waitcnt lgkmcnt(12)
	v_add_co_u32 v50, vcc_lo, 0x1000, v2
	v_add_co_ci_u32_e32 v51, vcc_lo, 0, v3, vcc_lo
	s_waitcnt lgkmcnt(11)
	flat_store_b32 v[50:51], v49
	s_or_b32 exec_lo, exec_lo, s3
	s_delay_alu instid0(SALU_CYCLE_1)
	s_mov_b32 s3, exec_lo
	v_cmpx_gt_u32_e64 s2, v32
	s_cbranch_execz .LBB10_312
.LBB10_335:
	s_waitcnt lgkmcnt(11)
	v_add_co_u32 v49, vcc_lo, 0x1000, v2
	v_add_co_ci_u32_e32 v50, vcc_lo, 0, v3, vcc_lo
	s_waitcnt lgkmcnt(10)
	flat_store_b32 v[49:50], v48 offset:1024
	s_or_b32 exec_lo, exec_lo, s3
	s_delay_alu instid0(SALU_CYCLE_1)
	s_mov_b32 s3, exec_lo
	v_cmpx_gt_u32_e64 s2, v31
	s_cbranch_execz .LBB10_313
.LBB10_336:
	s_waitcnt lgkmcnt(10)
	v_add_co_u32 v48, vcc_lo, 0x1000, v2
	v_add_co_ci_u32_e32 v49, vcc_lo, 0, v3, vcc_lo
	s_waitcnt lgkmcnt(9)
	flat_store_b32 v[48:49], v47 offset:2048
	s_or_b32 exec_lo, exec_lo, s3
	s_delay_alu instid0(SALU_CYCLE_1)
	s_mov_b32 s3, exec_lo
	v_cmpx_gt_u32_e64 s2, v30
	s_cbranch_execz .LBB10_314
.LBB10_337:
	s_waitcnt lgkmcnt(9)
	v_add_co_u32 v47, vcc_lo, 0x1000, v2
	v_add_co_ci_u32_e32 v48, vcc_lo, 0, v3, vcc_lo
	s_waitcnt lgkmcnt(8)
	flat_store_b32 v[47:48], v46 offset:3072
	s_or_b32 exec_lo, exec_lo, s3
	s_delay_alu instid0(SALU_CYCLE_1)
	s_mov_b32 s3, exec_lo
	v_cmpx_gt_u32_e64 s2, v29
	s_cbranch_execz .LBB10_315
.LBB10_338:
	s_waitcnt lgkmcnt(8)
	v_add_co_u32 v46, vcc_lo, 0x2000, v2
	v_add_co_ci_u32_e32 v47, vcc_lo, 0, v3, vcc_lo
	s_waitcnt lgkmcnt(7)
	flat_store_b32 v[46:47], v44
	s_or_b32 exec_lo, exec_lo, s3
	s_delay_alu instid0(SALU_CYCLE_1)
	s_mov_b32 s3, exec_lo
	v_cmpx_gt_u32_e64 s2, v28
	s_cbranch_execz .LBB10_316
.LBB10_339:
	s_waitcnt lgkmcnt(8)
	v_add_co_u32 v46, vcc_lo, 0x2000, v2
	v_add_co_ci_u32_e32 v47, vcc_lo, 0, v3, vcc_lo
	s_waitcnt lgkmcnt(6)
	flat_store_b32 v[46:47], v45 offset:1024
	s_or_b32 exec_lo, exec_lo, s3
	s_delay_alu instid0(SALU_CYCLE_1)
	s_mov_b32 s3, exec_lo
	v_cmpx_gt_u32_e64 s2, v27
	s_cbranch_execz .LBB10_317
.LBB10_340:
	s_waitcnt lgkmcnt(7)
	v_add_co_u32 v44, vcc_lo, 0x2000, v2
	s_waitcnt lgkmcnt(6)
	v_add_co_ci_u32_e32 v45, vcc_lo, 0, v3, vcc_lo
	s_waitcnt lgkmcnt(5)
	flat_store_b32 v[44:45], v43 offset:2048
	s_or_b32 exec_lo, exec_lo, s3
	s_delay_alu instid0(SALU_CYCLE_1)
	s_mov_b32 s3, exec_lo
	v_cmpx_gt_u32_e64 s2, v26
	s_cbranch_execz .LBB10_318
.LBB10_341:
	s_waitcnt lgkmcnt(5)
	v_add_co_u32 v43, vcc_lo, 0x2000, v2
	v_add_co_ci_u32_e32 v44, vcc_lo, 0, v3, vcc_lo
	s_waitcnt lgkmcnt(4)
	flat_store_b32 v[43:44], v42 offset:3072
	s_or_b32 exec_lo, exec_lo, s3
	s_delay_alu instid0(SALU_CYCLE_1)
	s_mov_b32 s3, exec_lo
	v_cmpx_gt_u32_e64 s2, v25
	s_cbranch_execz .LBB10_319
.LBB10_342:
	s_waitcnt lgkmcnt(4)
	v_add_co_u32 v42, vcc_lo, 0x3000, v2
	v_add_co_ci_u32_e32 v43, vcc_lo, 0, v3, vcc_lo
	s_waitcnt lgkmcnt(3)
	flat_store_b32 v[42:43], v41
	s_or_b32 exec_lo, exec_lo, s3
	s_delay_alu instid0(SALU_CYCLE_1)
	s_mov_b32 s3, exec_lo
	v_cmpx_gt_u32_e64 s2, v24
	s_cbranch_execz .LBB10_320
.LBB10_343:
	s_waitcnt lgkmcnt(3)
	v_add_co_u32 v41, vcc_lo, 0x3000, v2
	v_add_co_ci_u32_e32 v42, vcc_lo, 0, v3, vcc_lo
	s_waitcnt lgkmcnt(2)
	flat_store_b32 v[41:42], v40 offset:1024
	s_or_b32 exec_lo, exec_lo, s3
	s_delay_alu instid0(SALU_CYCLE_1)
	s_mov_b32 s3, exec_lo
	v_cmpx_gt_u32_e64 s2, v13
	s_cbranch_execnz .LBB10_321
	s_branch .LBB10_322
.LBB10_344:
                                        ; implicit-def: $vgpr33_vgpr34
	s_branch .LBB10_249
.LBB10_345:
                                        ; implicit-def: $vgpr33_vgpr34
	s_branch .LBB10_108
.LBB10_346:
                                        ; implicit-def: $vgpr33_vgpr34
	s_branch .LBB10_245
	.section	.rodata,"a",@progbits
	.p2align	6, 0x0
	.amdhsa_kernel _ZN7rocprim17ROCPRIM_400000_NS6detail17trampoline_kernelINS0_14default_configENS1_27scan_by_key_config_selectorImiEEZZNS1_16scan_by_key_implILNS1_25lookback_scan_determinismE0ELb0ES3_N6thrust23THRUST_200600_302600_NS18transform_iteratorI9row_indexNS9_17counting_iteratorImNS9_11use_defaultESD_SD_EESD_SD_EENS9_6detail15normal_iteratorINS9_10device_ptrIiEEEESK_iNS9_4plusIvEENS9_8equal_toIvEEiEE10hipError_tPvRmT2_T3_T4_T5_mT6_T7_P12ihipStream_tbENKUlT_T0_E_clISt17integral_constantIbLb0EES15_EEDaS10_S11_EUlS10_E_NS1_11comp_targetILNS1_3genE9ELNS1_11target_archE1100ELNS1_3gpuE3ELNS1_3repE0EEENS1_30default_config_static_selectorELNS0_4arch9wavefront6targetE0EEEvT1_
		.amdhsa_group_segment_fixed_size 37888
		.amdhsa_private_segment_fixed_size 0
		.amdhsa_kernarg_size 120
		.amdhsa_user_sgpr_count 15
		.amdhsa_user_sgpr_dispatch_ptr 0
		.amdhsa_user_sgpr_queue_ptr 0
		.amdhsa_user_sgpr_kernarg_segment_ptr 1
		.amdhsa_user_sgpr_dispatch_id 0
		.amdhsa_user_sgpr_private_segment_size 0
		.amdhsa_wavefront_size32 1
		.amdhsa_uses_dynamic_stack 0
		.amdhsa_enable_private_segment 0
		.amdhsa_system_sgpr_workgroup_id_x 1
		.amdhsa_system_sgpr_workgroup_id_y 0
		.amdhsa_system_sgpr_workgroup_id_z 0
		.amdhsa_system_sgpr_workgroup_info 0
		.amdhsa_system_vgpr_workitem_id 0
		.amdhsa_next_free_vgpr 75
		.amdhsa_next_free_sgpr 58
		.amdhsa_reserve_vcc 1
		.amdhsa_float_round_mode_32 0
		.amdhsa_float_round_mode_16_64 0
		.amdhsa_float_denorm_mode_32 3
		.amdhsa_float_denorm_mode_16_64 3
		.amdhsa_dx10_clamp 1
		.amdhsa_ieee_mode 1
		.amdhsa_fp16_overflow 0
		.amdhsa_workgroup_processor_mode 1
		.amdhsa_memory_ordered 1
		.amdhsa_forward_progress 0
		.amdhsa_shared_vgpr_count 0
		.amdhsa_exception_fp_ieee_invalid_op 0
		.amdhsa_exception_fp_denorm_src 0
		.amdhsa_exception_fp_ieee_div_zero 0
		.amdhsa_exception_fp_ieee_overflow 0
		.amdhsa_exception_fp_ieee_underflow 0
		.amdhsa_exception_fp_ieee_inexact 0
		.amdhsa_exception_int_div_zero 0
	.end_amdhsa_kernel
	.section	.text._ZN7rocprim17ROCPRIM_400000_NS6detail17trampoline_kernelINS0_14default_configENS1_27scan_by_key_config_selectorImiEEZZNS1_16scan_by_key_implILNS1_25lookback_scan_determinismE0ELb0ES3_N6thrust23THRUST_200600_302600_NS18transform_iteratorI9row_indexNS9_17counting_iteratorImNS9_11use_defaultESD_SD_EESD_SD_EENS9_6detail15normal_iteratorINS9_10device_ptrIiEEEESK_iNS9_4plusIvEENS9_8equal_toIvEEiEE10hipError_tPvRmT2_T3_T4_T5_mT6_T7_P12ihipStream_tbENKUlT_T0_E_clISt17integral_constantIbLb0EES15_EEDaS10_S11_EUlS10_E_NS1_11comp_targetILNS1_3genE9ELNS1_11target_archE1100ELNS1_3gpuE3ELNS1_3repE0EEENS1_30default_config_static_selectorELNS0_4arch9wavefront6targetE0EEEvT1_,"axG",@progbits,_ZN7rocprim17ROCPRIM_400000_NS6detail17trampoline_kernelINS0_14default_configENS1_27scan_by_key_config_selectorImiEEZZNS1_16scan_by_key_implILNS1_25lookback_scan_determinismE0ELb0ES3_N6thrust23THRUST_200600_302600_NS18transform_iteratorI9row_indexNS9_17counting_iteratorImNS9_11use_defaultESD_SD_EESD_SD_EENS9_6detail15normal_iteratorINS9_10device_ptrIiEEEESK_iNS9_4plusIvEENS9_8equal_toIvEEiEE10hipError_tPvRmT2_T3_T4_T5_mT6_T7_P12ihipStream_tbENKUlT_T0_E_clISt17integral_constantIbLb0EES15_EEDaS10_S11_EUlS10_E_NS1_11comp_targetILNS1_3genE9ELNS1_11target_archE1100ELNS1_3gpuE3ELNS1_3repE0EEENS1_30default_config_static_selectorELNS0_4arch9wavefront6targetE0EEEvT1_,comdat
.Lfunc_end10:
	.size	_ZN7rocprim17ROCPRIM_400000_NS6detail17trampoline_kernelINS0_14default_configENS1_27scan_by_key_config_selectorImiEEZZNS1_16scan_by_key_implILNS1_25lookback_scan_determinismE0ELb0ES3_N6thrust23THRUST_200600_302600_NS18transform_iteratorI9row_indexNS9_17counting_iteratorImNS9_11use_defaultESD_SD_EESD_SD_EENS9_6detail15normal_iteratorINS9_10device_ptrIiEEEESK_iNS9_4plusIvEENS9_8equal_toIvEEiEE10hipError_tPvRmT2_T3_T4_T5_mT6_T7_P12ihipStream_tbENKUlT_T0_E_clISt17integral_constantIbLb0EES15_EEDaS10_S11_EUlS10_E_NS1_11comp_targetILNS1_3genE9ELNS1_11target_archE1100ELNS1_3gpuE3ELNS1_3repE0EEENS1_30default_config_static_selectorELNS0_4arch9wavefront6targetE0EEEvT1_, .Lfunc_end10-_ZN7rocprim17ROCPRIM_400000_NS6detail17trampoline_kernelINS0_14default_configENS1_27scan_by_key_config_selectorImiEEZZNS1_16scan_by_key_implILNS1_25lookback_scan_determinismE0ELb0ES3_N6thrust23THRUST_200600_302600_NS18transform_iteratorI9row_indexNS9_17counting_iteratorImNS9_11use_defaultESD_SD_EESD_SD_EENS9_6detail15normal_iteratorINS9_10device_ptrIiEEEESK_iNS9_4plusIvEENS9_8equal_toIvEEiEE10hipError_tPvRmT2_T3_T4_T5_mT6_T7_P12ihipStream_tbENKUlT_T0_E_clISt17integral_constantIbLb0EES15_EEDaS10_S11_EUlS10_E_NS1_11comp_targetILNS1_3genE9ELNS1_11target_archE1100ELNS1_3gpuE3ELNS1_3repE0EEENS1_30default_config_static_selectorELNS0_4arch9wavefront6targetE0EEEvT1_
                                        ; -- End function
	.section	.AMDGPU.csdata,"",@progbits
; Kernel info:
; codeLenInByte = 48824
; NumSgprs: 60
; NumVgprs: 75
; ScratchSize: 0
; MemoryBound: 0
; FloatMode: 240
; IeeeMode: 1
; LDSByteSize: 37888 bytes/workgroup (compile time only)
; SGPRBlocks: 7
; VGPRBlocks: 9
; NumSGPRsForWavesPerEU: 60
; NumVGPRsForWavesPerEU: 75
; Occupancy: 6
; WaveLimiterHint : 1
; COMPUTE_PGM_RSRC2:SCRATCH_EN: 0
; COMPUTE_PGM_RSRC2:USER_SGPR: 15
; COMPUTE_PGM_RSRC2:TRAP_HANDLER: 0
; COMPUTE_PGM_RSRC2:TGID_X_EN: 1
; COMPUTE_PGM_RSRC2:TGID_Y_EN: 0
; COMPUTE_PGM_RSRC2:TGID_Z_EN: 0
; COMPUTE_PGM_RSRC2:TIDIG_COMP_CNT: 0
	.section	.text._ZN7rocprim17ROCPRIM_400000_NS6detail17trampoline_kernelINS0_14default_configENS1_27scan_by_key_config_selectorImiEEZZNS1_16scan_by_key_implILNS1_25lookback_scan_determinismE0ELb0ES3_N6thrust23THRUST_200600_302600_NS18transform_iteratorI9row_indexNS9_17counting_iteratorImNS9_11use_defaultESD_SD_EESD_SD_EENS9_6detail15normal_iteratorINS9_10device_ptrIiEEEESK_iNS9_4plusIvEENS9_8equal_toIvEEiEE10hipError_tPvRmT2_T3_T4_T5_mT6_T7_P12ihipStream_tbENKUlT_T0_E_clISt17integral_constantIbLb0EES15_EEDaS10_S11_EUlS10_E_NS1_11comp_targetILNS1_3genE8ELNS1_11target_archE1030ELNS1_3gpuE2ELNS1_3repE0EEENS1_30default_config_static_selectorELNS0_4arch9wavefront6targetE0EEEvT1_,"axG",@progbits,_ZN7rocprim17ROCPRIM_400000_NS6detail17trampoline_kernelINS0_14default_configENS1_27scan_by_key_config_selectorImiEEZZNS1_16scan_by_key_implILNS1_25lookback_scan_determinismE0ELb0ES3_N6thrust23THRUST_200600_302600_NS18transform_iteratorI9row_indexNS9_17counting_iteratorImNS9_11use_defaultESD_SD_EESD_SD_EENS9_6detail15normal_iteratorINS9_10device_ptrIiEEEESK_iNS9_4plusIvEENS9_8equal_toIvEEiEE10hipError_tPvRmT2_T3_T4_T5_mT6_T7_P12ihipStream_tbENKUlT_T0_E_clISt17integral_constantIbLb0EES15_EEDaS10_S11_EUlS10_E_NS1_11comp_targetILNS1_3genE8ELNS1_11target_archE1030ELNS1_3gpuE2ELNS1_3repE0EEENS1_30default_config_static_selectorELNS0_4arch9wavefront6targetE0EEEvT1_,comdat
	.protected	_ZN7rocprim17ROCPRIM_400000_NS6detail17trampoline_kernelINS0_14default_configENS1_27scan_by_key_config_selectorImiEEZZNS1_16scan_by_key_implILNS1_25lookback_scan_determinismE0ELb0ES3_N6thrust23THRUST_200600_302600_NS18transform_iteratorI9row_indexNS9_17counting_iteratorImNS9_11use_defaultESD_SD_EESD_SD_EENS9_6detail15normal_iteratorINS9_10device_ptrIiEEEESK_iNS9_4plusIvEENS9_8equal_toIvEEiEE10hipError_tPvRmT2_T3_T4_T5_mT6_T7_P12ihipStream_tbENKUlT_T0_E_clISt17integral_constantIbLb0EES15_EEDaS10_S11_EUlS10_E_NS1_11comp_targetILNS1_3genE8ELNS1_11target_archE1030ELNS1_3gpuE2ELNS1_3repE0EEENS1_30default_config_static_selectorELNS0_4arch9wavefront6targetE0EEEvT1_ ; -- Begin function _ZN7rocprim17ROCPRIM_400000_NS6detail17trampoline_kernelINS0_14default_configENS1_27scan_by_key_config_selectorImiEEZZNS1_16scan_by_key_implILNS1_25lookback_scan_determinismE0ELb0ES3_N6thrust23THRUST_200600_302600_NS18transform_iteratorI9row_indexNS9_17counting_iteratorImNS9_11use_defaultESD_SD_EESD_SD_EENS9_6detail15normal_iteratorINS9_10device_ptrIiEEEESK_iNS9_4plusIvEENS9_8equal_toIvEEiEE10hipError_tPvRmT2_T3_T4_T5_mT6_T7_P12ihipStream_tbENKUlT_T0_E_clISt17integral_constantIbLb0EES15_EEDaS10_S11_EUlS10_E_NS1_11comp_targetILNS1_3genE8ELNS1_11target_archE1030ELNS1_3gpuE2ELNS1_3repE0EEENS1_30default_config_static_selectorELNS0_4arch9wavefront6targetE0EEEvT1_
	.globl	_ZN7rocprim17ROCPRIM_400000_NS6detail17trampoline_kernelINS0_14default_configENS1_27scan_by_key_config_selectorImiEEZZNS1_16scan_by_key_implILNS1_25lookback_scan_determinismE0ELb0ES3_N6thrust23THRUST_200600_302600_NS18transform_iteratorI9row_indexNS9_17counting_iteratorImNS9_11use_defaultESD_SD_EESD_SD_EENS9_6detail15normal_iteratorINS9_10device_ptrIiEEEESK_iNS9_4plusIvEENS9_8equal_toIvEEiEE10hipError_tPvRmT2_T3_T4_T5_mT6_T7_P12ihipStream_tbENKUlT_T0_E_clISt17integral_constantIbLb0EES15_EEDaS10_S11_EUlS10_E_NS1_11comp_targetILNS1_3genE8ELNS1_11target_archE1030ELNS1_3gpuE2ELNS1_3repE0EEENS1_30default_config_static_selectorELNS0_4arch9wavefront6targetE0EEEvT1_
	.p2align	8
	.type	_ZN7rocprim17ROCPRIM_400000_NS6detail17trampoline_kernelINS0_14default_configENS1_27scan_by_key_config_selectorImiEEZZNS1_16scan_by_key_implILNS1_25lookback_scan_determinismE0ELb0ES3_N6thrust23THRUST_200600_302600_NS18transform_iteratorI9row_indexNS9_17counting_iteratorImNS9_11use_defaultESD_SD_EESD_SD_EENS9_6detail15normal_iteratorINS9_10device_ptrIiEEEESK_iNS9_4plusIvEENS9_8equal_toIvEEiEE10hipError_tPvRmT2_T3_T4_T5_mT6_T7_P12ihipStream_tbENKUlT_T0_E_clISt17integral_constantIbLb0EES15_EEDaS10_S11_EUlS10_E_NS1_11comp_targetILNS1_3genE8ELNS1_11target_archE1030ELNS1_3gpuE2ELNS1_3repE0EEENS1_30default_config_static_selectorELNS0_4arch9wavefront6targetE0EEEvT1_,@function
_ZN7rocprim17ROCPRIM_400000_NS6detail17trampoline_kernelINS0_14default_configENS1_27scan_by_key_config_selectorImiEEZZNS1_16scan_by_key_implILNS1_25lookback_scan_determinismE0ELb0ES3_N6thrust23THRUST_200600_302600_NS18transform_iteratorI9row_indexNS9_17counting_iteratorImNS9_11use_defaultESD_SD_EESD_SD_EENS9_6detail15normal_iteratorINS9_10device_ptrIiEEEESK_iNS9_4plusIvEENS9_8equal_toIvEEiEE10hipError_tPvRmT2_T3_T4_T5_mT6_T7_P12ihipStream_tbENKUlT_T0_E_clISt17integral_constantIbLb0EES15_EEDaS10_S11_EUlS10_E_NS1_11comp_targetILNS1_3genE8ELNS1_11target_archE1030ELNS1_3gpuE2ELNS1_3repE0EEENS1_30default_config_static_selectorELNS0_4arch9wavefront6targetE0EEEvT1_: ; @_ZN7rocprim17ROCPRIM_400000_NS6detail17trampoline_kernelINS0_14default_configENS1_27scan_by_key_config_selectorImiEEZZNS1_16scan_by_key_implILNS1_25lookback_scan_determinismE0ELb0ES3_N6thrust23THRUST_200600_302600_NS18transform_iteratorI9row_indexNS9_17counting_iteratorImNS9_11use_defaultESD_SD_EESD_SD_EENS9_6detail15normal_iteratorINS9_10device_ptrIiEEEESK_iNS9_4plusIvEENS9_8equal_toIvEEiEE10hipError_tPvRmT2_T3_T4_T5_mT6_T7_P12ihipStream_tbENKUlT_T0_E_clISt17integral_constantIbLb0EES15_EEDaS10_S11_EUlS10_E_NS1_11comp_targetILNS1_3genE8ELNS1_11target_archE1030ELNS1_3gpuE2ELNS1_3repE0EEENS1_30default_config_static_selectorELNS0_4arch9wavefront6targetE0EEEvT1_
; %bb.0:
	.section	.rodata,"a",@progbits
	.p2align	6, 0x0
	.amdhsa_kernel _ZN7rocprim17ROCPRIM_400000_NS6detail17trampoline_kernelINS0_14default_configENS1_27scan_by_key_config_selectorImiEEZZNS1_16scan_by_key_implILNS1_25lookback_scan_determinismE0ELb0ES3_N6thrust23THRUST_200600_302600_NS18transform_iteratorI9row_indexNS9_17counting_iteratorImNS9_11use_defaultESD_SD_EESD_SD_EENS9_6detail15normal_iteratorINS9_10device_ptrIiEEEESK_iNS9_4plusIvEENS9_8equal_toIvEEiEE10hipError_tPvRmT2_T3_T4_T5_mT6_T7_P12ihipStream_tbENKUlT_T0_E_clISt17integral_constantIbLb0EES15_EEDaS10_S11_EUlS10_E_NS1_11comp_targetILNS1_3genE8ELNS1_11target_archE1030ELNS1_3gpuE2ELNS1_3repE0EEENS1_30default_config_static_selectorELNS0_4arch9wavefront6targetE0EEEvT1_
		.amdhsa_group_segment_fixed_size 0
		.amdhsa_private_segment_fixed_size 0
		.amdhsa_kernarg_size 120
		.amdhsa_user_sgpr_count 15
		.amdhsa_user_sgpr_dispatch_ptr 0
		.amdhsa_user_sgpr_queue_ptr 0
		.amdhsa_user_sgpr_kernarg_segment_ptr 1
		.amdhsa_user_sgpr_dispatch_id 0
		.amdhsa_user_sgpr_private_segment_size 0
		.amdhsa_wavefront_size32 1
		.amdhsa_uses_dynamic_stack 0
		.amdhsa_enable_private_segment 0
		.amdhsa_system_sgpr_workgroup_id_x 1
		.amdhsa_system_sgpr_workgroup_id_y 0
		.amdhsa_system_sgpr_workgroup_id_z 0
		.amdhsa_system_sgpr_workgroup_info 0
		.amdhsa_system_vgpr_workitem_id 0
		.amdhsa_next_free_vgpr 1
		.amdhsa_next_free_sgpr 1
		.amdhsa_reserve_vcc 0
		.amdhsa_float_round_mode_32 0
		.amdhsa_float_round_mode_16_64 0
		.amdhsa_float_denorm_mode_32 3
		.amdhsa_float_denorm_mode_16_64 3
		.amdhsa_dx10_clamp 1
		.amdhsa_ieee_mode 1
		.amdhsa_fp16_overflow 0
		.amdhsa_workgroup_processor_mode 1
		.amdhsa_memory_ordered 1
		.amdhsa_forward_progress 0
		.amdhsa_shared_vgpr_count 0
		.amdhsa_exception_fp_ieee_invalid_op 0
		.amdhsa_exception_fp_denorm_src 0
		.amdhsa_exception_fp_ieee_div_zero 0
		.amdhsa_exception_fp_ieee_overflow 0
		.amdhsa_exception_fp_ieee_underflow 0
		.amdhsa_exception_fp_ieee_inexact 0
		.amdhsa_exception_int_div_zero 0
	.end_amdhsa_kernel
	.section	.text._ZN7rocprim17ROCPRIM_400000_NS6detail17trampoline_kernelINS0_14default_configENS1_27scan_by_key_config_selectorImiEEZZNS1_16scan_by_key_implILNS1_25lookback_scan_determinismE0ELb0ES3_N6thrust23THRUST_200600_302600_NS18transform_iteratorI9row_indexNS9_17counting_iteratorImNS9_11use_defaultESD_SD_EESD_SD_EENS9_6detail15normal_iteratorINS9_10device_ptrIiEEEESK_iNS9_4plusIvEENS9_8equal_toIvEEiEE10hipError_tPvRmT2_T3_T4_T5_mT6_T7_P12ihipStream_tbENKUlT_T0_E_clISt17integral_constantIbLb0EES15_EEDaS10_S11_EUlS10_E_NS1_11comp_targetILNS1_3genE8ELNS1_11target_archE1030ELNS1_3gpuE2ELNS1_3repE0EEENS1_30default_config_static_selectorELNS0_4arch9wavefront6targetE0EEEvT1_,"axG",@progbits,_ZN7rocprim17ROCPRIM_400000_NS6detail17trampoline_kernelINS0_14default_configENS1_27scan_by_key_config_selectorImiEEZZNS1_16scan_by_key_implILNS1_25lookback_scan_determinismE0ELb0ES3_N6thrust23THRUST_200600_302600_NS18transform_iteratorI9row_indexNS9_17counting_iteratorImNS9_11use_defaultESD_SD_EESD_SD_EENS9_6detail15normal_iteratorINS9_10device_ptrIiEEEESK_iNS9_4plusIvEENS9_8equal_toIvEEiEE10hipError_tPvRmT2_T3_T4_T5_mT6_T7_P12ihipStream_tbENKUlT_T0_E_clISt17integral_constantIbLb0EES15_EEDaS10_S11_EUlS10_E_NS1_11comp_targetILNS1_3genE8ELNS1_11target_archE1030ELNS1_3gpuE2ELNS1_3repE0EEENS1_30default_config_static_selectorELNS0_4arch9wavefront6targetE0EEEvT1_,comdat
.Lfunc_end11:
	.size	_ZN7rocprim17ROCPRIM_400000_NS6detail17trampoline_kernelINS0_14default_configENS1_27scan_by_key_config_selectorImiEEZZNS1_16scan_by_key_implILNS1_25lookback_scan_determinismE0ELb0ES3_N6thrust23THRUST_200600_302600_NS18transform_iteratorI9row_indexNS9_17counting_iteratorImNS9_11use_defaultESD_SD_EESD_SD_EENS9_6detail15normal_iteratorINS9_10device_ptrIiEEEESK_iNS9_4plusIvEENS9_8equal_toIvEEiEE10hipError_tPvRmT2_T3_T4_T5_mT6_T7_P12ihipStream_tbENKUlT_T0_E_clISt17integral_constantIbLb0EES15_EEDaS10_S11_EUlS10_E_NS1_11comp_targetILNS1_3genE8ELNS1_11target_archE1030ELNS1_3gpuE2ELNS1_3repE0EEENS1_30default_config_static_selectorELNS0_4arch9wavefront6targetE0EEEvT1_, .Lfunc_end11-_ZN7rocprim17ROCPRIM_400000_NS6detail17trampoline_kernelINS0_14default_configENS1_27scan_by_key_config_selectorImiEEZZNS1_16scan_by_key_implILNS1_25lookback_scan_determinismE0ELb0ES3_N6thrust23THRUST_200600_302600_NS18transform_iteratorI9row_indexNS9_17counting_iteratorImNS9_11use_defaultESD_SD_EESD_SD_EENS9_6detail15normal_iteratorINS9_10device_ptrIiEEEESK_iNS9_4plusIvEENS9_8equal_toIvEEiEE10hipError_tPvRmT2_T3_T4_T5_mT6_T7_P12ihipStream_tbENKUlT_T0_E_clISt17integral_constantIbLb0EES15_EEDaS10_S11_EUlS10_E_NS1_11comp_targetILNS1_3genE8ELNS1_11target_archE1030ELNS1_3gpuE2ELNS1_3repE0EEENS1_30default_config_static_selectorELNS0_4arch9wavefront6targetE0EEEvT1_
                                        ; -- End function
	.section	.AMDGPU.csdata,"",@progbits
; Kernel info:
; codeLenInByte = 0
; NumSgprs: 0
; NumVgprs: 0
; ScratchSize: 0
; MemoryBound: 0
; FloatMode: 240
; IeeeMode: 1
; LDSByteSize: 0 bytes/workgroup (compile time only)
; SGPRBlocks: 0
; VGPRBlocks: 0
; NumSGPRsForWavesPerEU: 1
; NumVGPRsForWavesPerEU: 1
; Occupancy: 16
; WaveLimiterHint : 0
; COMPUTE_PGM_RSRC2:SCRATCH_EN: 0
; COMPUTE_PGM_RSRC2:USER_SGPR: 15
; COMPUTE_PGM_RSRC2:TRAP_HANDLER: 0
; COMPUTE_PGM_RSRC2:TGID_X_EN: 1
; COMPUTE_PGM_RSRC2:TGID_Y_EN: 0
; COMPUTE_PGM_RSRC2:TGID_Z_EN: 0
; COMPUTE_PGM_RSRC2:TIDIG_COMP_CNT: 0
	.section	.text._ZN7rocprim17ROCPRIM_400000_NS6detail30init_device_scan_by_key_kernelINS1_19lookback_scan_stateINS0_5tupleIJibEEELb1ELb1EEEN6thrust23THRUST_200600_302600_NS18transform_iteratorI9row_indexNS8_17counting_iteratorImNS8_11use_defaultESC_SC_EESC_SC_EEjNS1_16block_id_wrapperIjLb1EEEEEvT_jjPNSH_10value_typeET0_PNSt15iterator_traitsISK_E10value_typeEmT1_T2_,"axG",@progbits,_ZN7rocprim17ROCPRIM_400000_NS6detail30init_device_scan_by_key_kernelINS1_19lookback_scan_stateINS0_5tupleIJibEEELb1ELb1EEEN6thrust23THRUST_200600_302600_NS18transform_iteratorI9row_indexNS8_17counting_iteratorImNS8_11use_defaultESC_SC_EESC_SC_EEjNS1_16block_id_wrapperIjLb1EEEEEvT_jjPNSH_10value_typeET0_PNSt15iterator_traitsISK_E10value_typeEmT1_T2_,comdat
	.protected	_ZN7rocprim17ROCPRIM_400000_NS6detail30init_device_scan_by_key_kernelINS1_19lookback_scan_stateINS0_5tupleIJibEEELb1ELb1EEEN6thrust23THRUST_200600_302600_NS18transform_iteratorI9row_indexNS8_17counting_iteratorImNS8_11use_defaultESC_SC_EESC_SC_EEjNS1_16block_id_wrapperIjLb1EEEEEvT_jjPNSH_10value_typeET0_PNSt15iterator_traitsISK_E10value_typeEmT1_T2_ ; -- Begin function _ZN7rocprim17ROCPRIM_400000_NS6detail30init_device_scan_by_key_kernelINS1_19lookback_scan_stateINS0_5tupleIJibEEELb1ELb1EEEN6thrust23THRUST_200600_302600_NS18transform_iteratorI9row_indexNS8_17counting_iteratorImNS8_11use_defaultESC_SC_EESC_SC_EEjNS1_16block_id_wrapperIjLb1EEEEEvT_jjPNSH_10value_typeET0_PNSt15iterator_traitsISK_E10value_typeEmT1_T2_
	.globl	_ZN7rocprim17ROCPRIM_400000_NS6detail30init_device_scan_by_key_kernelINS1_19lookback_scan_stateINS0_5tupleIJibEEELb1ELb1EEEN6thrust23THRUST_200600_302600_NS18transform_iteratorI9row_indexNS8_17counting_iteratorImNS8_11use_defaultESC_SC_EESC_SC_EEjNS1_16block_id_wrapperIjLb1EEEEEvT_jjPNSH_10value_typeET0_PNSt15iterator_traitsISK_E10value_typeEmT1_T2_
	.p2align	8
	.type	_ZN7rocprim17ROCPRIM_400000_NS6detail30init_device_scan_by_key_kernelINS1_19lookback_scan_stateINS0_5tupleIJibEEELb1ELb1EEEN6thrust23THRUST_200600_302600_NS18transform_iteratorI9row_indexNS8_17counting_iteratorImNS8_11use_defaultESC_SC_EESC_SC_EEjNS1_16block_id_wrapperIjLb1EEEEEvT_jjPNSH_10value_typeET0_PNSt15iterator_traitsISK_E10value_typeEmT1_T2_,@function
_ZN7rocprim17ROCPRIM_400000_NS6detail30init_device_scan_by_key_kernelINS1_19lookback_scan_stateINS0_5tupleIJibEEELb1ELb1EEEN6thrust23THRUST_200600_302600_NS18transform_iteratorI9row_indexNS8_17counting_iteratorImNS8_11use_defaultESC_SC_EESC_SC_EEjNS1_16block_id_wrapperIjLb1EEEEEvT_jjPNSH_10value_typeET0_PNSt15iterator_traitsISK_E10value_typeEmT1_T2_: ; @_ZN7rocprim17ROCPRIM_400000_NS6detail30init_device_scan_by_key_kernelINS1_19lookback_scan_stateINS0_5tupleIJibEEELb1ELb1EEEN6thrust23THRUST_200600_302600_NS18transform_iteratorI9row_indexNS8_17counting_iteratorImNS8_11use_defaultESC_SC_EESC_SC_EEjNS1_16block_id_wrapperIjLb1EEEEEvT_jjPNSH_10value_typeET0_PNSt15iterator_traitsISK_E10value_typeEmT1_T2_
; %bb.0:
	s_clause 0x2
	s_load_b32 s2, s[0:1], 0x54
	s_load_b256 s[4:11], s[0:1], 0x0
	s_load_b32 s12, s[0:1], 0x48
	s_waitcnt lgkmcnt(0)
	s_and_b32 s13, s2, 0xffff
	s_cmp_eq_u64 s[8:9], 0
	v_mad_u64_u32 v[4:5], null, s15, s13, v[0:1]
	s_cbranch_scc1 .LBB12_10
; %bb.1:
	s_cmp_lt_u32 s7, s6
	s_mov_b32 s3, 0
	s_cselect_b32 s2, s7, 0
	s_mov_b32 s14, exec_lo
	s_delay_alu instid0(VALU_DEP_1)
	v_cmpx_eq_u32_e64 s2, v4
	s_cbranch_execz .LBB12_9
; %bb.2:
	s_add_i32 s2, s7, 32
	s_mov_b32 s7, exec_lo
	s_lshl_b64 s[2:3], s[2:3], 4
	v_mov_b32_e32 v6, 0
	s_add_u32 s2, s4, s2
	s_addc_u32 s3, s5, s3
	s_delay_alu instid0(SALU_CYCLE_1) | instskip(SKIP_2) | instid1(VALU_DEP_1)
	v_dual_mov_b32 v0, s2 :: v_dual_mov_b32 v1, s3
	;;#ASMSTART
	global_load_dwordx4 v[0:3], v[0:1] off glc	
s_waitcnt vmcnt(0)
	;;#ASMEND
	v_and_b32_e32 v5, 0xff, v2
	v_cmpx_eq_u64_e32 0, v[5:6]
	s_cbranch_execz .LBB12_8
; %bb.3:
	v_dual_mov_b32 v8, s3 :: v_dual_mov_b32 v7, s2
	s_mov_b32 s3, 1
	s_mov_b32 s2, 0
	.p2align	6
.LBB12_4:                               ; =>This Loop Header: Depth=1
                                        ;     Child Loop BB12_5 Depth 2
	s_max_u32 s15, s3, 1
.LBB12_5:                               ;   Parent Loop BB12_4 Depth=1
                                        ; =>  This Inner Loop Header: Depth=2
	s_delay_alu instid0(SALU_CYCLE_1)
	s_add_i32 s15, s15, -1
	s_sleep 1
	s_cmp_eq_u32 s15, 0
	s_cbranch_scc0 .LBB12_5
; %bb.6:                                ;   in Loop: Header=BB12_4 Depth=1
	;;#ASMSTART
	global_load_dwordx4 v[0:3], v[7:8] off glc	
s_waitcnt vmcnt(0)
	;;#ASMEND
	v_and_b32_e32 v5, 0xff, v2
	s_cmp_lt_u32 s3, 32
	s_cselect_b32 s15, -1, 0
	s_delay_alu instid0(VALU_DEP_1) | instskip(SKIP_3) | instid1(SALU_CYCLE_1)
	v_cmp_ne_u64_e32 vcc_lo, 0, v[5:6]
	s_cmp_lg_u32 s15, 0
	s_addc_u32 s3, s3, 0
	s_or_b32 s2, vcc_lo, s2
	s_and_not1_b32 exec_lo, exec_lo, s2
	s_cbranch_execnz .LBB12_4
; %bb.7:
	s_or_b32 exec_lo, exec_lo, s2
.LBB12_8:
	s_delay_alu instid0(SALU_CYCLE_1)
	s_or_b32 exec_lo, exec_lo, s7
	v_mov_b32_e32 v2, 0
	s_clause 0x1
	global_store_b32 v2, v0, s[8:9]
	global_store_b8 v2, v1, s[8:9] offset:4
.LBB12_9:
	s_or_b32 exec_lo, exec_lo, s14
.LBB12_10:
	s_delay_alu instid0(SALU_CYCLE_1) | instskip(NEXT) | instid1(VALU_DEP_1)
	s_mov_b32 s2, exec_lo
	v_cmpx_eq_u32_e32 0, v4
	s_cbranch_execz .LBB12_12
; %bb.11:
	s_load_b64 s[8:9], s[0:1], 0x40
	v_mov_b32_e32 v0, 0
	s_waitcnt lgkmcnt(0)
	global_store_b32 v0, v0, s[8:9]
.LBB12_12:
	s_or_b32 exec_lo, exec_lo, s2
	s_delay_alu instid0(SALU_CYCLE_1)
	s_mov_b32 s2, exec_lo
	v_cmpx_gt_u32_e64 s6, v4
	s_cbranch_execz .LBB12_14
; %bb.13:
	v_dual_mov_b32 v1, 0 :: v_dual_add_nc_u32 v0, 32, v4
	s_delay_alu instid0(VALU_DEP_1) | instskip(SKIP_3) | instid1(VALU_DEP_4)
	v_lshlrev_b64 v[5:6], 4, v[0:1]
	v_mov_b32_e32 v0, v1
	v_mov_b32_e32 v2, v1
	;; [unrolled: 1-line block ×3, first 2 shown]
	v_add_co_u32 v5, vcc_lo, s4, v5
	v_add_co_ci_u32_e32 v6, vcc_lo, s5, v6, vcc_lo
	global_store_b128 v[5:6], v[0:3], off
.LBB12_14:
	s_or_b32 exec_lo, exec_lo, s2
	v_mov_b32_e32 v5, 0
	s_mov_b32 s2, exec_lo
	v_cmpx_gt_u32_e32 32, v4
	s_cbranch_execz .LBB12_16
; %bb.15:
	s_delay_alu instid0(VALU_DEP_2) | instskip(SKIP_3) | instid1(VALU_DEP_4)
	v_lshlrev_b64 v[6:7], 4, v[4:5]
	v_dual_mov_b32 v2, 0xff :: v_dual_mov_b32 v1, v5
	v_mov_b32_e32 v0, v5
	v_mov_b32_e32 v3, v5
	v_add_co_u32 v6, vcc_lo, s4, v6
	v_add_co_ci_u32_e32 v7, vcc_lo, s5, v7, vcc_lo
	global_store_b128 v[6:7], v[0:3], off
.LBB12_16:
	s_or_b32 exec_lo, exec_lo, s2
	s_load_b64 s[2:3], s[0:1], 0x30
	s_mov_b32 s4, exec_lo
	s_waitcnt lgkmcnt(0)
	v_cmpx_gt_u64_e64 s[2:3], v[4:5]
	s_cbranch_execz .LBB12_23
; %bb.17:
	s_clause 0x1
	s_load_b128 s[4:7], s[0:1], 0x20
	s_load_b32 s14, s[0:1], 0x38
	s_mov_b32 s9, 0
	s_waitcnt lgkmcnt(0)
	v_cvt_f32_u32_e32 v0, s4
	v_cvt_f32_u32_e32 v1, s5
	;; [unrolled: 1-line block ×3, first 2 shown]
	s_add_i32 s0, s14, -1
	s_delay_alu instid0(SALU_CYCLE_1) | instskip(NEXT) | instid1(VALU_DEP_2)
	s_add_u32 s0, s0, s10
	v_fmamk_f32 v0, v1, 0x4f800000, v0
	s_delay_alu instid0(VALU_DEP_2) | instskip(SKIP_4) | instid1(VALU_DEP_1)
	v_rcp_iflag_f32_e32 v1, v2
	s_addc_u32 s1, 0, s11
	s_sub_i32 s8, 0, s4
	v_lshlrev_b64 v[2:3], 3, v[4:5]
	v_rcp_f32_e32 v0, v0
	v_add_co_u32 v2, vcc_lo, s6, v2
	s_waitcnt_depctr 0xfff
	v_mul_f32_e32 v1, 0x4f7ffffe, v1
	v_add_co_ci_u32_e32 v3, vcc_lo, s7, v3, vcc_lo
	v_mul_f32_e32 v6, 0x5f7ffffc, v0
	s_delay_alu instid0(VALU_DEP_1) | instskip(NEXT) | instid1(VALU_DEP_1)
	v_mul_f32_e32 v0, 0x2f800000, v6
	v_trunc_f32_e32 v8, v0
	v_mov_b32_e32 v0, 0
	v_cvt_u32_f32_e32 v1, v1
	s_delay_alu instid0(VALU_DEP_3) | instskip(SKIP_1) | instid1(VALU_DEP_3)
	v_fmamk_f32 v10, v8, 0xcf800000, v6
	v_cvt_u32_f32_e32 v11, v8
	v_mul_lo_u32 v7, s8, v1
	s_mul_i32 s8, s12, s13
	s_delay_alu instid0(VALU_DEP_3) | instskip(SKIP_2) | instid1(VALU_DEP_2)
	v_cvt_u32_f32_e32 v10, v10
	s_mul_i32 s10, s14, s8
	s_lshl_b64 s[6:7], s[8:9], 3
	v_mul_hi_u32 v9, v1, v7
	v_mad_u64_u32 v[6:7], null, s14, v4, s[0:1]
	s_mul_hi_u32 s1, s14, s8
	s_delay_alu instid0(VALU_DEP_2)
	v_add_nc_u32_e32 v12, v1, v9
	s_branch .LBB12_19
.LBB12_18:                              ;   in Loop: Header=BB12_19 Depth=1
	s_or_b32 exec_lo, exec_lo, s0
	v_add_co_u32 v4, vcc_lo, v4, s8
	v_add_co_ci_u32_e32 v5, vcc_lo, 0, v5, vcc_lo
	v_add_co_u32 v6, vcc_lo, v6, s10
	v_add_co_ci_u32_e32 v7, vcc_lo, s1, v7, vcc_lo
	s_delay_alu instid0(VALU_DEP_3) | instskip(SKIP_2) | instid1(VALU_DEP_1)
	v_cmp_le_u64_e32 vcc_lo, s[2:3], v[4:5]
	global_store_b64 v[2:3], v[8:9], off
	v_add_co_u32 v2, s0, v2, s6
	v_add_co_ci_u32_e64 v3, s0, s7, v3, s0
	s_or_b32 s9, vcc_lo, s9
	s_delay_alu instid0(SALU_CYCLE_1)
	s_and_not1_b32 exec_lo, exec_lo, s9
	s_cbranch_execz .LBB12_23
.LBB12_19:                              ; =>This Inner Loop Header: Depth=1
	s_delay_alu instid0(VALU_DEP_2) | instskip(SKIP_1) | instid1(VALU_DEP_1)
	v_or_b32_e32 v1, s5, v7
                                        ; implicit-def: $vgpr8_vgpr9
	s_mov_b32 s0, exec_lo
	v_cmpx_ne_u64_e32 0, v[0:1]
	s_xor_b32 s11, exec_lo, s0
	s_cbranch_execz .LBB12_21
; %bb.20:                               ;   in Loop: Header=BB12_19 Depth=1
	s_sub_u32 s0, 0, s4
	s_subb_u32 s12, 0, s5
	v_mul_hi_u32 v1, s0, v10
	v_mul_lo_u32 v8, s0, v11
	v_mul_lo_u32 v9, s12, v10
	s_delay_alu instid0(VALU_DEP_2) | instskip(SKIP_1) | instid1(VALU_DEP_2)
	v_add_nc_u32_e32 v1, v1, v8
	v_mul_lo_u32 v8, s0, v10
	v_add_nc_u32_e32 v1, v1, v9
	s_delay_alu instid0(VALU_DEP_2) | instskip(NEXT) | instid1(VALU_DEP_2)
	v_mul_hi_u32 v9, v10, v8
	v_mul_lo_u32 v13, v10, v1
	v_mul_hi_u32 v14, v10, v1
	v_mul_hi_u32 v15, v11, v8
	v_mul_lo_u32 v8, v11, v8
	v_mul_hi_u32 v16, v11, v1
	v_mul_lo_u32 v1, v11, v1
	v_add_co_u32 v9, vcc_lo, v9, v13
	v_add_co_ci_u32_e32 v13, vcc_lo, 0, v14, vcc_lo
	s_delay_alu instid0(VALU_DEP_2) | instskip(NEXT) | instid1(VALU_DEP_2)
	v_add_co_u32 v8, vcc_lo, v9, v8
	v_add_co_ci_u32_e32 v8, vcc_lo, v13, v15, vcc_lo
	v_add_co_ci_u32_e32 v9, vcc_lo, 0, v16, vcc_lo
	s_delay_alu instid0(VALU_DEP_2) | instskip(NEXT) | instid1(VALU_DEP_2)
	v_add_co_u32 v1, vcc_lo, v8, v1
	v_add_co_ci_u32_e32 v8, vcc_lo, 0, v9, vcc_lo
	s_delay_alu instid0(VALU_DEP_2) | instskip(NEXT) | instid1(VALU_DEP_2)
	v_add_co_u32 v1, vcc_lo, v10, v1
	v_add_co_ci_u32_e32 v8, vcc_lo, v11, v8, vcc_lo
	s_delay_alu instid0(VALU_DEP_2) | instskip(SKIP_1) | instid1(VALU_DEP_3)
	v_mul_hi_u32 v9, s0, v1
	v_mul_lo_u32 v14, s12, v1
	v_mul_lo_u32 v13, s0, v8
	s_delay_alu instid0(VALU_DEP_1) | instskip(SKIP_1) | instid1(VALU_DEP_2)
	v_add_nc_u32_e32 v9, v9, v13
	v_mul_lo_u32 v13, s0, v1
	v_add_nc_u32_e32 v9, v9, v14
	s_delay_alu instid0(VALU_DEP_2) | instskip(NEXT) | instid1(VALU_DEP_2)
	v_mul_hi_u32 v14, v1, v13
	v_mul_lo_u32 v15, v1, v9
	v_mul_hi_u32 v16, v1, v9
	v_mul_hi_u32 v17, v8, v13
	v_mul_lo_u32 v13, v8, v13
	v_mul_hi_u32 v18, v8, v9
	v_mul_lo_u32 v9, v8, v9
	v_add_co_u32 v14, vcc_lo, v14, v15
	v_add_co_ci_u32_e32 v15, vcc_lo, 0, v16, vcc_lo
	s_delay_alu instid0(VALU_DEP_2) | instskip(NEXT) | instid1(VALU_DEP_2)
	v_add_co_u32 v13, vcc_lo, v14, v13
	v_add_co_ci_u32_e32 v13, vcc_lo, v15, v17, vcc_lo
	v_add_co_ci_u32_e32 v14, vcc_lo, 0, v18, vcc_lo
	s_delay_alu instid0(VALU_DEP_2) | instskip(NEXT) | instid1(VALU_DEP_2)
	v_add_co_u32 v9, vcc_lo, v13, v9
	v_add_co_ci_u32_e32 v13, vcc_lo, 0, v14, vcc_lo
	s_delay_alu instid0(VALU_DEP_2) | instskip(NEXT) | instid1(VALU_DEP_2)
	v_add_co_u32 v1, vcc_lo, v1, v9
	v_add_co_ci_u32_e32 v17, vcc_lo, v8, v13, vcc_lo
	s_delay_alu instid0(VALU_DEP_2) | instskip(SKIP_1) | instid1(VALU_DEP_3)
	v_mul_hi_u32 v18, v6, v1
	v_mad_u64_u32 v[13:14], null, v7, v1, 0
	v_mad_u64_u32 v[8:9], null, v6, v17, 0
	;; [unrolled: 1-line block ×3, first 2 shown]
	s_delay_alu instid0(VALU_DEP_2) | instskip(NEXT) | instid1(VALU_DEP_3)
	v_add_co_u32 v1, vcc_lo, v18, v8
	v_add_co_ci_u32_e32 v8, vcc_lo, 0, v9, vcc_lo
	s_delay_alu instid0(VALU_DEP_2) | instskip(NEXT) | instid1(VALU_DEP_2)
	v_add_co_u32 v1, vcc_lo, v1, v13
	v_add_co_ci_u32_e32 v1, vcc_lo, v8, v14, vcc_lo
	v_add_co_ci_u32_e32 v8, vcc_lo, 0, v16, vcc_lo
	s_delay_alu instid0(VALU_DEP_2) | instskip(NEXT) | instid1(VALU_DEP_2)
	v_add_co_u32 v1, vcc_lo, v1, v15
	v_add_co_ci_u32_e32 v13, vcc_lo, 0, v8, vcc_lo
	s_delay_alu instid0(VALU_DEP_2) | instskip(SKIP_1) | instid1(VALU_DEP_3)
	v_mul_lo_u32 v14, s5, v1
	v_mad_u64_u32 v[8:9], null, s4, v1, 0
	v_mul_lo_u32 v15, s4, v13
	s_delay_alu instid0(VALU_DEP_2) | instskip(NEXT) | instid1(VALU_DEP_2)
	v_sub_co_u32 v8, vcc_lo, v6, v8
	v_add3_u32 v9, v9, v15, v14
	s_delay_alu instid0(VALU_DEP_1) | instskip(NEXT) | instid1(VALU_DEP_1)
	v_sub_nc_u32_e32 v14, v7, v9
	v_subrev_co_ci_u32_e64 v14, s0, s5, v14, vcc_lo
	v_add_co_u32 v15, s0, v1, 2
	s_delay_alu instid0(VALU_DEP_1) | instskip(SKIP_3) | instid1(VALU_DEP_3)
	v_add_co_ci_u32_e64 v16, s0, 0, v13, s0
	v_sub_co_u32 v17, s0, v8, s4
	v_sub_co_ci_u32_e32 v9, vcc_lo, v7, v9, vcc_lo
	v_subrev_co_ci_u32_e64 v14, s0, 0, v14, s0
	v_cmp_le_u32_e32 vcc_lo, s4, v17
	s_delay_alu instid0(VALU_DEP_3) | instskip(SKIP_1) | instid1(VALU_DEP_4)
	v_cmp_eq_u32_e64 s0, s5, v9
	v_cndmask_b32_e64 v17, 0, -1, vcc_lo
	v_cmp_le_u32_e32 vcc_lo, s5, v14
	v_cndmask_b32_e64 v18, 0, -1, vcc_lo
	v_cmp_le_u32_e32 vcc_lo, s4, v8
	;; [unrolled: 2-line block ×3, first 2 shown]
	v_cndmask_b32_e64 v19, 0, -1, vcc_lo
	v_cmp_eq_u32_e32 vcc_lo, s5, v14
	s_delay_alu instid0(VALU_DEP_2) | instskip(SKIP_3) | instid1(VALU_DEP_3)
	v_cndmask_b32_e64 v8, v19, v8, s0
	v_cndmask_b32_e32 v14, v18, v17, vcc_lo
	v_add_co_u32 v17, vcc_lo, v1, 1
	v_add_co_ci_u32_e32 v18, vcc_lo, 0, v13, vcc_lo
	v_cmp_ne_u32_e32 vcc_lo, 0, v14
	s_delay_alu instid0(VALU_DEP_2) | instskip(SKIP_1) | instid1(VALU_DEP_2)
	v_dual_cndmask_b32 v9, v18, v16 :: v_dual_cndmask_b32 v14, v17, v15
	v_cmp_ne_u32_e32 vcc_lo, 0, v8
	v_cndmask_b32_e32 v9, v13, v9, vcc_lo
	s_delay_alu instid0(VALU_DEP_3)
	v_cndmask_b32_e32 v8, v1, v14, vcc_lo
.LBB12_21:                              ;   in Loop: Header=BB12_19 Depth=1
	s_and_not1_saveexec_b32 s0, s11
	s_cbranch_execz .LBB12_18
; %bb.22:                               ;   in Loop: Header=BB12_19 Depth=1
	v_mul_hi_u32 v1, v6, v12
	s_delay_alu instid0(VALU_DEP_1) | instskip(SKIP_1) | instid1(VALU_DEP_2)
	v_mul_lo_u32 v8, v1, s4
	v_add_nc_u32_e32 v9, 1, v1
	v_sub_nc_u32_e32 v8, v6, v8
	s_delay_alu instid0(VALU_DEP_1) | instskip(SKIP_1) | instid1(VALU_DEP_2)
	v_subrev_nc_u32_e32 v13, s4, v8
	v_cmp_le_u32_e32 vcc_lo, s4, v8
	v_cndmask_b32_e32 v8, v8, v13, vcc_lo
	v_cndmask_b32_e32 v1, v1, v9, vcc_lo
	s_delay_alu instid0(VALU_DEP_2) | instskip(NEXT) | instid1(VALU_DEP_2)
	v_cmp_le_u32_e32 vcc_lo, s4, v8
	v_add_nc_u32_e32 v9, 1, v1
	s_delay_alu instid0(VALU_DEP_1)
	v_dual_cndmask_b32 v8, v1, v9 :: v_dual_mov_b32 v9, v0
	s_branch .LBB12_18
.LBB12_23:
	s_nop 0
	s_sendmsg sendmsg(MSG_DEALLOC_VGPRS)
	s_endpgm
	.section	.rodata,"a",@progbits
	.p2align	6, 0x0
	.amdhsa_kernel _ZN7rocprim17ROCPRIM_400000_NS6detail30init_device_scan_by_key_kernelINS1_19lookback_scan_stateINS0_5tupleIJibEEELb1ELb1EEEN6thrust23THRUST_200600_302600_NS18transform_iteratorI9row_indexNS8_17counting_iteratorImNS8_11use_defaultESC_SC_EESC_SC_EEjNS1_16block_id_wrapperIjLb1EEEEEvT_jjPNSH_10value_typeET0_PNSt15iterator_traitsISK_E10value_typeEmT1_T2_
		.amdhsa_group_segment_fixed_size 0
		.amdhsa_private_segment_fixed_size 0
		.amdhsa_kernarg_size 328
		.amdhsa_user_sgpr_count 15
		.amdhsa_user_sgpr_dispatch_ptr 0
		.amdhsa_user_sgpr_queue_ptr 0
		.amdhsa_user_sgpr_kernarg_segment_ptr 1
		.amdhsa_user_sgpr_dispatch_id 0
		.amdhsa_user_sgpr_private_segment_size 0
		.amdhsa_wavefront_size32 1
		.amdhsa_uses_dynamic_stack 0
		.amdhsa_enable_private_segment 0
		.amdhsa_system_sgpr_workgroup_id_x 1
		.amdhsa_system_sgpr_workgroup_id_y 0
		.amdhsa_system_sgpr_workgroup_id_z 0
		.amdhsa_system_sgpr_workgroup_info 0
		.amdhsa_system_vgpr_workitem_id 0
		.amdhsa_next_free_vgpr 20
		.amdhsa_next_free_sgpr 16
		.amdhsa_reserve_vcc 1
		.amdhsa_float_round_mode_32 0
		.amdhsa_float_round_mode_16_64 0
		.amdhsa_float_denorm_mode_32 3
		.amdhsa_float_denorm_mode_16_64 3
		.amdhsa_dx10_clamp 1
		.amdhsa_ieee_mode 1
		.amdhsa_fp16_overflow 0
		.amdhsa_workgroup_processor_mode 1
		.amdhsa_memory_ordered 1
		.amdhsa_forward_progress 0
		.amdhsa_shared_vgpr_count 0
		.amdhsa_exception_fp_ieee_invalid_op 0
		.amdhsa_exception_fp_denorm_src 0
		.amdhsa_exception_fp_ieee_div_zero 0
		.amdhsa_exception_fp_ieee_overflow 0
		.amdhsa_exception_fp_ieee_underflow 0
		.amdhsa_exception_fp_ieee_inexact 0
		.amdhsa_exception_int_div_zero 0
	.end_amdhsa_kernel
	.section	.text._ZN7rocprim17ROCPRIM_400000_NS6detail30init_device_scan_by_key_kernelINS1_19lookback_scan_stateINS0_5tupleIJibEEELb1ELb1EEEN6thrust23THRUST_200600_302600_NS18transform_iteratorI9row_indexNS8_17counting_iteratorImNS8_11use_defaultESC_SC_EESC_SC_EEjNS1_16block_id_wrapperIjLb1EEEEEvT_jjPNSH_10value_typeET0_PNSt15iterator_traitsISK_E10value_typeEmT1_T2_,"axG",@progbits,_ZN7rocprim17ROCPRIM_400000_NS6detail30init_device_scan_by_key_kernelINS1_19lookback_scan_stateINS0_5tupleIJibEEELb1ELb1EEEN6thrust23THRUST_200600_302600_NS18transform_iteratorI9row_indexNS8_17counting_iteratorImNS8_11use_defaultESC_SC_EESC_SC_EEjNS1_16block_id_wrapperIjLb1EEEEEvT_jjPNSH_10value_typeET0_PNSt15iterator_traitsISK_E10value_typeEmT1_T2_,comdat
.Lfunc_end12:
	.size	_ZN7rocprim17ROCPRIM_400000_NS6detail30init_device_scan_by_key_kernelINS1_19lookback_scan_stateINS0_5tupleIJibEEELb1ELb1EEEN6thrust23THRUST_200600_302600_NS18transform_iteratorI9row_indexNS8_17counting_iteratorImNS8_11use_defaultESC_SC_EESC_SC_EEjNS1_16block_id_wrapperIjLb1EEEEEvT_jjPNSH_10value_typeET0_PNSt15iterator_traitsISK_E10value_typeEmT1_T2_, .Lfunc_end12-_ZN7rocprim17ROCPRIM_400000_NS6detail30init_device_scan_by_key_kernelINS1_19lookback_scan_stateINS0_5tupleIJibEEELb1ELb1EEEN6thrust23THRUST_200600_302600_NS18transform_iteratorI9row_indexNS8_17counting_iteratorImNS8_11use_defaultESC_SC_EESC_SC_EEjNS1_16block_id_wrapperIjLb1EEEEEvT_jjPNSH_10value_typeET0_PNSt15iterator_traitsISK_E10value_typeEmT1_T2_
                                        ; -- End function
	.section	.AMDGPU.csdata,"",@progbits
; Kernel info:
; codeLenInByte = 1644
; NumSgprs: 18
; NumVgprs: 20
; ScratchSize: 0
; MemoryBound: 0
; FloatMode: 240
; IeeeMode: 1
; LDSByteSize: 0 bytes/workgroup (compile time only)
; SGPRBlocks: 2
; VGPRBlocks: 2
; NumSGPRsForWavesPerEU: 18
; NumVGPRsForWavesPerEU: 20
; Occupancy: 16
; WaveLimiterHint : 0
; COMPUTE_PGM_RSRC2:SCRATCH_EN: 0
; COMPUTE_PGM_RSRC2:USER_SGPR: 15
; COMPUTE_PGM_RSRC2:TRAP_HANDLER: 0
; COMPUTE_PGM_RSRC2:TGID_X_EN: 1
; COMPUTE_PGM_RSRC2:TGID_Y_EN: 0
; COMPUTE_PGM_RSRC2:TGID_Z_EN: 0
; COMPUTE_PGM_RSRC2:TIDIG_COMP_CNT: 0
	.section	.text._ZN7rocprim17ROCPRIM_400000_NS6detail30init_device_scan_by_key_kernelINS1_19lookback_scan_stateINS0_5tupleIJibEEELb1ELb1EEENS1_16block_id_wrapperIjLb1EEEEEvT_jjPNS9_10value_typeET0_,"axG",@progbits,_ZN7rocprim17ROCPRIM_400000_NS6detail30init_device_scan_by_key_kernelINS1_19lookback_scan_stateINS0_5tupleIJibEEELb1ELb1EEENS1_16block_id_wrapperIjLb1EEEEEvT_jjPNS9_10value_typeET0_,comdat
	.protected	_ZN7rocprim17ROCPRIM_400000_NS6detail30init_device_scan_by_key_kernelINS1_19lookback_scan_stateINS0_5tupleIJibEEELb1ELb1EEENS1_16block_id_wrapperIjLb1EEEEEvT_jjPNS9_10value_typeET0_ ; -- Begin function _ZN7rocprim17ROCPRIM_400000_NS6detail30init_device_scan_by_key_kernelINS1_19lookback_scan_stateINS0_5tupleIJibEEELb1ELb1EEENS1_16block_id_wrapperIjLb1EEEEEvT_jjPNS9_10value_typeET0_
	.globl	_ZN7rocprim17ROCPRIM_400000_NS6detail30init_device_scan_by_key_kernelINS1_19lookback_scan_stateINS0_5tupleIJibEEELb1ELb1EEENS1_16block_id_wrapperIjLb1EEEEEvT_jjPNS9_10value_typeET0_
	.p2align	8
	.type	_ZN7rocprim17ROCPRIM_400000_NS6detail30init_device_scan_by_key_kernelINS1_19lookback_scan_stateINS0_5tupleIJibEEELb1ELb1EEENS1_16block_id_wrapperIjLb1EEEEEvT_jjPNS9_10value_typeET0_,@function
_ZN7rocprim17ROCPRIM_400000_NS6detail30init_device_scan_by_key_kernelINS1_19lookback_scan_stateINS0_5tupleIJibEEELb1ELb1EEENS1_16block_id_wrapperIjLb1EEEEEvT_jjPNS9_10value_typeET0_: ; @_ZN7rocprim17ROCPRIM_400000_NS6detail30init_device_scan_by_key_kernelINS1_19lookback_scan_stateINS0_5tupleIJibEEELb1ELb1EEENS1_16block_id_wrapperIjLb1EEEEEvT_jjPNS9_10value_typeET0_
; %bb.0:
	s_clause 0x1
	s_load_b32 s8, s[0:1], 0x2c
	s_load_b256 s[0:7], s[0:1], 0x0
	s_waitcnt lgkmcnt(0)
	s_and_b32 s8, s8, 0xffff
	s_cmp_eq_u64 s[4:5], 0
	v_mad_u64_u32 v[1:2], null, s15, s8, v[0:1]
	s_cbranch_scc1 .LBB13_10
; %bb.1:
	s_cmp_lt_u32 s3, s2
	s_mov_b32 s9, 0
	s_cselect_b32 s8, s3, 0
	s_mov_b32 s10, exec_lo
	s_delay_alu instid0(VALU_DEP_1)
	v_cmpx_eq_u32_e64 s8, v1
	s_cbranch_execz .LBB13_9
; %bb.2:
	s_add_i32 s8, s3, 32
	s_mov_b32 s3, exec_lo
	s_lshl_b64 s[8:9], s[8:9], 4
	v_mov_b32_e32 v6, 0
	s_add_u32 s8, s0, s8
	s_addc_u32 s9, s1, s9
	s_delay_alu instid0(SALU_CYCLE_1) | instskip(SKIP_2) | instid1(VALU_DEP_1)
	v_dual_mov_b32 v2, s8 :: v_dual_mov_b32 v3, s9
	;;#ASMSTART
	global_load_dwordx4 v[2:5], v[2:3] off glc	
s_waitcnt vmcnt(0)
	;;#ASMEND
	v_and_b32_e32 v5, 0xff, v4
	v_cmpx_eq_u64_e32 0, v[5:6]
	s_cbranch_execz .LBB13_8
; %bb.3:
	v_dual_mov_b32 v7, s8 :: v_dual_mov_b32 v8, s9
	s_mov_b32 s9, 1
	s_mov_b32 s8, 0
	.p2align	6
.LBB13_4:                               ; =>This Loop Header: Depth=1
                                        ;     Child Loop BB13_5 Depth 2
	s_max_u32 s11, s9, 1
.LBB13_5:                               ;   Parent Loop BB13_4 Depth=1
                                        ; =>  This Inner Loop Header: Depth=2
	s_delay_alu instid0(SALU_CYCLE_1)
	s_add_i32 s11, s11, -1
	s_sleep 1
	s_cmp_eq_u32 s11, 0
	s_cbranch_scc0 .LBB13_5
; %bb.6:                                ;   in Loop: Header=BB13_4 Depth=1
	;;#ASMSTART
	global_load_dwordx4 v[2:5], v[7:8] off glc	
s_waitcnt vmcnt(0)
	;;#ASMEND
	v_and_b32_e32 v5, 0xff, v4
	s_cmp_lt_u32 s9, 32
	s_cselect_b32 s11, -1, 0
	s_delay_alu instid0(SALU_CYCLE_1) | instskip(NEXT) | instid1(VALU_DEP_1)
	s_cmp_lg_u32 s11, 0
	v_cmp_ne_u64_e32 vcc_lo, 0, v[5:6]
	s_addc_u32 s9, s9, 0
	s_or_b32 s8, vcc_lo, s8
	s_delay_alu instid0(SALU_CYCLE_1)
	s_and_not1_b32 exec_lo, exec_lo, s8
	s_cbranch_execnz .LBB13_4
; %bb.7:
	s_or_b32 exec_lo, exec_lo, s8
.LBB13_8:
	s_delay_alu instid0(SALU_CYCLE_1)
	s_or_b32 exec_lo, exec_lo, s3
	v_mov_b32_e32 v0, 0
	s_clause 0x1
	global_store_b32 v0, v2, s[4:5]
	global_store_b8 v0, v3, s[4:5] offset:4
.LBB13_9:
	s_or_b32 exec_lo, exec_lo, s10
.LBB13_10:
	s_delay_alu instid0(SALU_CYCLE_1) | instskip(NEXT) | instid1(VALU_DEP_1)
	s_mov_b32 s3, exec_lo
	v_cmpx_eq_u32_e32 0, v1
	s_cbranch_execz .LBB13_12
; %bb.11:
	v_mov_b32_e32 v0, 0
	global_store_b32 v0, v0, s[6:7]
.LBB13_12:
	s_or_b32 exec_lo, exec_lo, s3
	v_cmp_gt_u32_e32 vcc_lo, s2, v1
	s_and_saveexec_b32 s2, vcc_lo
	s_cbranch_execz .LBB13_14
; %bb.13:
	v_dual_mov_b32 v3, 0 :: v_dual_add_nc_u32 v2, 32, v1
	s_delay_alu instid0(VALU_DEP_1) | instskip(SKIP_2) | instid1(VALU_DEP_3)
	v_lshlrev_b64 v[5:6], 4, v[2:3]
	v_mov_b32_e32 v2, v3
	v_mov_b32_e32 v4, v3
	v_add_co_u32 v7, vcc_lo, s0, v5
	s_delay_alu instid0(VALU_DEP_4)
	v_add_co_ci_u32_e32 v8, vcc_lo, s1, v6, vcc_lo
	v_mov_b32_e32 v5, v3
	global_store_b128 v[7:8], v[2:5], off
.LBB13_14:
	s_or_b32 exec_lo, exec_lo, s2
	s_delay_alu instid0(SALU_CYCLE_1)
	s_mov_b32 s2, exec_lo
	v_cmpx_gt_u32_e32 32, v1
	s_cbranch_execz .LBB13_16
; %bb.15:
	v_dual_mov_b32 v2, 0 :: v_dual_mov_b32 v3, 0xff
	s_delay_alu instid0(VALU_DEP_1) | instskip(SKIP_1) | instid1(VALU_DEP_2)
	v_lshlrev_b64 v[4:5], 4, v[1:2]
	v_mov_b32_e32 v1, v2
	v_add_co_u32 v6, vcc_lo, s0, v4
	s_delay_alu instid0(VALU_DEP_3)
	v_add_co_ci_u32_e32 v7, vcc_lo, s1, v5, vcc_lo
	v_mov_b32_e32 v4, v2
	global_store_b128 v[6:7], v[1:4], off
.LBB13_16:
	s_nop 0
	s_sendmsg sendmsg(MSG_DEALLOC_VGPRS)
	s_endpgm
	.section	.rodata,"a",@progbits
	.p2align	6, 0x0
	.amdhsa_kernel _ZN7rocprim17ROCPRIM_400000_NS6detail30init_device_scan_by_key_kernelINS1_19lookback_scan_stateINS0_5tupleIJibEEELb1ELb1EEENS1_16block_id_wrapperIjLb1EEEEEvT_jjPNS9_10value_typeET0_
		.amdhsa_group_segment_fixed_size 0
		.amdhsa_private_segment_fixed_size 0
		.amdhsa_kernarg_size 288
		.amdhsa_user_sgpr_count 15
		.amdhsa_user_sgpr_dispatch_ptr 0
		.amdhsa_user_sgpr_queue_ptr 0
		.amdhsa_user_sgpr_kernarg_segment_ptr 1
		.amdhsa_user_sgpr_dispatch_id 0
		.amdhsa_user_sgpr_private_segment_size 0
		.amdhsa_wavefront_size32 1
		.amdhsa_uses_dynamic_stack 0
		.amdhsa_enable_private_segment 0
		.amdhsa_system_sgpr_workgroup_id_x 1
		.amdhsa_system_sgpr_workgroup_id_y 0
		.amdhsa_system_sgpr_workgroup_id_z 0
		.amdhsa_system_sgpr_workgroup_info 0
		.amdhsa_system_vgpr_workitem_id 0
		.amdhsa_next_free_vgpr 9
		.amdhsa_next_free_sgpr 16
		.amdhsa_reserve_vcc 1
		.amdhsa_float_round_mode_32 0
		.amdhsa_float_round_mode_16_64 0
		.amdhsa_float_denorm_mode_32 3
		.amdhsa_float_denorm_mode_16_64 3
		.amdhsa_dx10_clamp 1
		.amdhsa_ieee_mode 1
		.amdhsa_fp16_overflow 0
		.amdhsa_workgroup_processor_mode 1
		.amdhsa_memory_ordered 1
		.amdhsa_forward_progress 0
		.amdhsa_shared_vgpr_count 0
		.amdhsa_exception_fp_ieee_invalid_op 0
		.amdhsa_exception_fp_denorm_src 0
		.amdhsa_exception_fp_ieee_div_zero 0
		.amdhsa_exception_fp_ieee_overflow 0
		.amdhsa_exception_fp_ieee_underflow 0
		.amdhsa_exception_fp_ieee_inexact 0
		.amdhsa_exception_int_div_zero 0
	.end_amdhsa_kernel
	.section	.text._ZN7rocprim17ROCPRIM_400000_NS6detail30init_device_scan_by_key_kernelINS1_19lookback_scan_stateINS0_5tupleIJibEEELb1ELb1EEENS1_16block_id_wrapperIjLb1EEEEEvT_jjPNS9_10value_typeET0_,"axG",@progbits,_ZN7rocprim17ROCPRIM_400000_NS6detail30init_device_scan_by_key_kernelINS1_19lookback_scan_stateINS0_5tupleIJibEEELb1ELb1EEENS1_16block_id_wrapperIjLb1EEEEEvT_jjPNS9_10value_typeET0_,comdat
.Lfunc_end13:
	.size	_ZN7rocprim17ROCPRIM_400000_NS6detail30init_device_scan_by_key_kernelINS1_19lookback_scan_stateINS0_5tupleIJibEEELb1ELb1EEENS1_16block_id_wrapperIjLb1EEEEEvT_jjPNS9_10value_typeET0_, .Lfunc_end13-_ZN7rocprim17ROCPRIM_400000_NS6detail30init_device_scan_by_key_kernelINS1_19lookback_scan_stateINS0_5tupleIJibEEELb1ELb1EEENS1_16block_id_wrapperIjLb1EEEEEvT_jjPNS9_10value_typeET0_
                                        ; -- End function
	.section	.AMDGPU.csdata,"",@progbits
; Kernel info:
; codeLenInByte = 528
; NumSgprs: 18
; NumVgprs: 9
; ScratchSize: 0
; MemoryBound: 0
; FloatMode: 240
; IeeeMode: 1
; LDSByteSize: 0 bytes/workgroup (compile time only)
; SGPRBlocks: 2
; VGPRBlocks: 1
; NumSGPRsForWavesPerEU: 18
; NumVGPRsForWavesPerEU: 9
; Occupancy: 16
; WaveLimiterHint : 0
; COMPUTE_PGM_RSRC2:SCRATCH_EN: 0
; COMPUTE_PGM_RSRC2:USER_SGPR: 15
; COMPUTE_PGM_RSRC2:TRAP_HANDLER: 0
; COMPUTE_PGM_RSRC2:TGID_X_EN: 1
; COMPUTE_PGM_RSRC2:TGID_Y_EN: 0
; COMPUTE_PGM_RSRC2:TGID_Z_EN: 0
; COMPUTE_PGM_RSRC2:TIDIG_COMP_CNT: 0
	.section	.text._ZN7rocprim17ROCPRIM_400000_NS6detail17trampoline_kernelINS0_14default_configENS1_27scan_by_key_config_selectorImiEEZZNS1_16scan_by_key_implILNS1_25lookback_scan_determinismE0ELb0ES3_N6thrust23THRUST_200600_302600_NS18transform_iteratorI9row_indexNS9_17counting_iteratorImNS9_11use_defaultESD_SD_EESD_SD_EENS9_6detail15normal_iteratorINS9_10device_ptrIiEEEESK_iNS9_4plusIvEENS9_8equal_toIvEEiEE10hipError_tPvRmT2_T3_T4_T5_mT6_T7_P12ihipStream_tbENKUlT_T0_E_clISt17integral_constantIbLb1EES15_EEDaS10_S11_EUlS10_E_NS1_11comp_targetILNS1_3genE0ELNS1_11target_archE4294967295ELNS1_3gpuE0ELNS1_3repE0EEENS1_30default_config_static_selectorELNS0_4arch9wavefront6targetE0EEEvT1_,"axG",@progbits,_ZN7rocprim17ROCPRIM_400000_NS6detail17trampoline_kernelINS0_14default_configENS1_27scan_by_key_config_selectorImiEEZZNS1_16scan_by_key_implILNS1_25lookback_scan_determinismE0ELb0ES3_N6thrust23THRUST_200600_302600_NS18transform_iteratorI9row_indexNS9_17counting_iteratorImNS9_11use_defaultESD_SD_EESD_SD_EENS9_6detail15normal_iteratorINS9_10device_ptrIiEEEESK_iNS9_4plusIvEENS9_8equal_toIvEEiEE10hipError_tPvRmT2_T3_T4_T5_mT6_T7_P12ihipStream_tbENKUlT_T0_E_clISt17integral_constantIbLb1EES15_EEDaS10_S11_EUlS10_E_NS1_11comp_targetILNS1_3genE0ELNS1_11target_archE4294967295ELNS1_3gpuE0ELNS1_3repE0EEENS1_30default_config_static_selectorELNS0_4arch9wavefront6targetE0EEEvT1_,comdat
	.protected	_ZN7rocprim17ROCPRIM_400000_NS6detail17trampoline_kernelINS0_14default_configENS1_27scan_by_key_config_selectorImiEEZZNS1_16scan_by_key_implILNS1_25lookback_scan_determinismE0ELb0ES3_N6thrust23THRUST_200600_302600_NS18transform_iteratorI9row_indexNS9_17counting_iteratorImNS9_11use_defaultESD_SD_EESD_SD_EENS9_6detail15normal_iteratorINS9_10device_ptrIiEEEESK_iNS9_4plusIvEENS9_8equal_toIvEEiEE10hipError_tPvRmT2_T3_T4_T5_mT6_T7_P12ihipStream_tbENKUlT_T0_E_clISt17integral_constantIbLb1EES15_EEDaS10_S11_EUlS10_E_NS1_11comp_targetILNS1_3genE0ELNS1_11target_archE4294967295ELNS1_3gpuE0ELNS1_3repE0EEENS1_30default_config_static_selectorELNS0_4arch9wavefront6targetE0EEEvT1_ ; -- Begin function _ZN7rocprim17ROCPRIM_400000_NS6detail17trampoline_kernelINS0_14default_configENS1_27scan_by_key_config_selectorImiEEZZNS1_16scan_by_key_implILNS1_25lookback_scan_determinismE0ELb0ES3_N6thrust23THRUST_200600_302600_NS18transform_iteratorI9row_indexNS9_17counting_iteratorImNS9_11use_defaultESD_SD_EESD_SD_EENS9_6detail15normal_iteratorINS9_10device_ptrIiEEEESK_iNS9_4plusIvEENS9_8equal_toIvEEiEE10hipError_tPvRmT2_T3_T4_T5_mT6_T7_P12ihipStream_tbENKUlT_T0_E_clISt17integral_constantIbLb1EES15_EEDaS10_S11_EUlS10_E_NS1_11comp_targetILNS1_3genE0ELNS1_11target_archE4294967295ELNS1_3gpuE0ELNS1_3repE0EEENS1_30default_config_static_selectorELNS0_4arch9wavefront6targetE0EEEvT1_
	.globl	_ZN7rocprim17ROCPRIM_400000_NS6detail17trampoline_kernelINS0_14default_configENS1_27scan_by_key_config_selectorImiEEZZNS1_16scan_by_key_implILNS1_25lookback_scan_determinismE0ELb0ES3_N6thrust23THRUST_200600_302600_NS18transform_iteratorI9row_indexNS9_17counting_iteratorImNS9_11use_defaultESD_SD_EESD_SD_EENS9_6detail15normal_iteratorINS9_10device_ptrIiEEEESK_iNS9_4plusIvEENS9_8equal_toIvEEiEE10hipError_tPvRmT2_T3_T4_T5_mT6_T7_P12ihipStream_tbENKUlT_T0_E_clISt17integral_constantIbLb1EES15_EEDaS10_S11_EUlS10_E_NS1_11comp_targetILNS1_3genE0ELNS1_11target_archE4294967295ELNS1_3gpuE0ELNS1_3repE0EEENS1_30default_config_static_selectorELNS0_4arch9wavefront6targetE0EEEvT1_
	.p2align	8
	.type	_ZN7rocprim17ROCPRIM_400000_NS6detail17trampoline_kernelINS0_14default_configENS1_27scan_by_key_config_selectorImiEEZZNS1_16scan_by_key_implILNS1_25lookback_scan_determinismE0ELb0ES3_N6thrust23THRUST_200600_302600_NS18transform_iteratorI9row_indexNS9_17counting_iteratorImNS9_11use_defaultESD_SD_EESD_SD_EENS9_6detail15normal_iteratorINS9_10device_ptrIiEEEESK_iNS9_4plusIvEENS9_8equal_toIvEEiEE10hipError_tPvRmT2_T3_T4_T5_mT6_T7_P12ihipStream_tbENKUlT_T0_E_clISt17integral_constantIbLb1EES15_EEDaS10_S11_EUlS10_E_NS1_11comp_targetILNS1_3genE0ELNS1_11target_archE4294967295ELNS1_3gpuE0ELNS1_3repE0EEENS1_30default_config_static_selectorELNS0_4arch9wavefront6targetE0EEEvT1_,@function
_ZN7rocprim17ROCPRIM_400000_NS6detail17trampoline_kernelINS0_14default_configENS1_27scan_by_key_config_selectorImiEEZZNS1_16scan_by_key_implILNS1_25lookback_scan_determinismE0ELb0ES3_N6thrust23THRUST_200600_302600_NS18transform_iteratorI9row_indexNS9_17counting_iteratorImNS9_11use_defaultESD_SD_EESD_SD_EENS9_6detail15normal_iteratorINS9_10device_ptrIiEEEESK_iNS9_4plusIvEENS9_8equal_toIvEEiEE10hipError_tPvRmT2_T3_T4_T5_mT6_T7_P12ihipStream_tbENKUlT_T0_E_clISt17integral_constantIbLb1EES15_EEDaS10_S11_EUlS10_E_NS1_11comp_targetILNS1_3genE0ELNS1_11target_archE4294967295ELNS1_3gpuE0ELNS1_3repE0EEENS1_30default_config_static_selectorELNS0_4arch9wavefront6targetE0EEEvT1_: ; @_ZN7rocprim17ROCPRIM_400000_NS6detail17trampoline_kernelINS0_14default_configENS1_27scan_by_key_config_selectorImiEEZZNS1_16scan_by_key_implILNS1_25lookback_scan_determinismE0ELb0ES3_N6thrust23THRUST_200600_302600_NS18transform_iteratorI9row_indexNS9_17counting_iteratorImNS9_11use_defaultESD_SD_EESD_SD_EENS9_6detail15normal_iteratorINS9_10device_ptrIiEEEESK_iNS9_4plusIvEENS9_8equal_toIvEEiEE10hipError_tPvRmT2_T3_T4_T5_mT6_T7_P12ihipStream_tbENKUlT_T0_E_clISt17integral_constantIbLb1EES15_EEDaS10_S11_EUlS10_E_NS1_11comp_targetILNS1_3genE0ELNS1_11target_archE4294967295ELNS1_3gpuE0ELNS1_3repE0EEENS1_30default_config_static_selectorELNS0_4arch9wavefront6targetE0EEEvT1_
; %bb.0:
	.section	.rodata,"a",@progbits
	.p2align	6, 0x0
	.amdhsa_kernel _ZN7rocprim17ROCPRIM_400000_NS6detail17trampoline_kernelINS0_14default_configENS1_27scan_by_key_config_selectorImiEEZZNS1_16scan_by_key_implILNS1_25lookback_scan_determinismE0ELb0ES3_N6thrust23THRUST_200600_302600_NS18transform_iteratorI9row_indexNS9_17counting_iteratorImNS9_11use_defaultESD_SD_EESD_SD_EENS9_6detail15normal_iteratorINS9_10device_ptrIiEEEESK_iNS9_4plusIvEENS9_8equal_toIvEEiEE10hipError_tPvRmT2_T3_T4_T5_mT6_T7_P12ihipStream_tbENKUlT_T0_E_clISt17integral_constantIbLb1EES15_EEDaS10_S11_EUlS10_E_NS1_11comp_targetILNS1_3genE0ELNS1_11target_archE4294967295ELNS1_3gpuE0ELNS1_3repE0EEENS1_30default_config_static_selectorELNS0_4arch9wavefront6targetE0EEEvT1_
		.amdhsa_group_segment_fixed_size 0
		.amdhsa_private_segment_fixed_size 0
		.amdhsa_kernarg_size 120
		.amdhsa_user_sgpr_count 15
		.amdhsa_user_sgpr_dispatch_ptr 0
		.amdhsa_user_sgpr_queue_ptr 0
		.amdhsa_user_sgpr_kernarg_segment_ptr 1
		.amdhsa_user_sgpr_dispatch_id 0
		.amdhsa_user_sgpr_private_segment_size 0
		.amdhsa_wavefront_size32 1
		.amdhsa_uses_dynamic_stack 0
		.amdhsa_enable_private_segment 0
		.amdhsa_system_sgpr_workgroup_id_x 1
		.amdhsa_system_sgpr_workgroup_id_y 0
		.amdhsa_system_sgpr_workgroup_id_z 0
		.amdhsa_system_sgpr_workgroup_info 0
		.amdhsa_system_vgpr_workitem_id 0
		.amdhsa_next_free_vgpr 1
		.amdhsa_next_free_sgpr 1
		.amdhsa_reserve_vcc 0
		.amdhsa_float_round_mode_32 0
		.amdhsa_float_round_mode_16_64 0
		.amdhsa_float_denorm_mode_32 3
		.amdhsa_float_denorm_mode_16_64 3
		.amdhsa_dx10_clamp 1
		.amdhsa_ieee_mode 1
		.amdhsa_fp16_overflow 0
		.amdhsa_workgroup_processor_mode 1
		.amdhsa_memory_ordered 1
		.amdhsa_forward_progress 0
		.amdhsa_shared_vgpr_count 0
		.amdhsa_exception_fp_ieee_invalid_op 0
		.amdhsa_exception_fp_denorm_src 0
		.amdhsa_exception_fp_ieee_div_zero 0
		.amdhsa_exception_fp_ieee_overflow 0
		.amdhsa_exception_fp_ieee_underflow 0
		.amdhsa_exception_fp_ieee_inexact 0
		.amdhsa_exception_int_div_zero 0
	.end_amdhsa_kernel
	.section	.text._ZN7rocprim17ROCPRIM_400000_NS6detail17trampoline_kernelINS0_14default_configENS1_27scan_by_key_config_selectorImiEEZZNS1_16scan_by_key_implILNS1_25lookback_scan_determinismE0ELb0ES3_N6thrust23THRUST_200600_302600_NS18transform_iteratorI9row_indexNS9_17counting_iteratorImNS9_11use_defaultESD_SD_EESD_SD_EENS9_6detail15normal_iteratorINS9_10device_ptrIiEEEESK_iNS9_4plusIvEENS9_8equal_toIvEEiEE10hipError_tPvRmT2_T3_T4_T5_mT6_T7_P12ihipStream_tbENKUlT_T0_E_clISt17integral_constantIbLb1EES15_EEDaS10_S11_EUlS10_E_NS1_11comp_targetILNS1_3genE0ELNS1_11target_archE4294967295ELNS1_3gpuE0ELNS1_3repE0EEENS1_30default_config_static_selectorELNS0_4arch9wavefront6targetE0EEEvT1_,"axG",@progbits,_ZN7rocprim17ROCPRIM_400000_NS6detail17trampoline_kernelINS0_14default_configENS1_27scan_by_key_config_selectorImiEEZZNS1_16scan_by_key_implILNS1_25lookback_scan_determinismE0ELb0ES3_N6thrust23THRUST_200600_302600_NS18transform_iteratorI9row_indexNS9_17counting_iteratorImNS9_11use_defaultESD_SD_EESD_SD_EENS9_6detail15normal_iteratorINS9_10device_ptrIiEEEESK_iNS9_4plusIvEENS9_8equal_toIvEEiEE10hipError_tPvRmT2_T3_T4_T5_mT6_T7_P12ihipStream_tbENKUlT_T0_E_clISt17integral_constantIbLb1EES15_EEDaS10_S11_EUlS10_E_NS1_11comp_targetILNS1_3genE0ELNS1_11target_archE4294967295ELNS1_3gpuE0ELNS1_3repE0EEENS1_30default_config_static_selectorELNS0_4arch9wavefront6targetE0EEEvT1_,comdat
.Lfunc_end14:
	.size	_ZN7rocprim17ROCPRIM_400000_NS6detail17trampoline_kernelINS0_14default_configENS1_27scan_by_key_config_selectorImiEEZZNS1_16scan_by_key_implILNS1_25lookback_scan_determinismE0ELb0ES3_N6thrust23THRUST_200600_302600_NS18transform_iteratorI9row_indexNS9_17counting_iteratorImNS9_11use_defaultESD_SD_EESD_SD_EENS9_6detail15normal_iteratorINS9_10device_ptrIiEEEESK_iNS9_4plusIvEENS9_8equal_toIvEEiEE10hipError_tPvRmT2_T3_T4_T5_mT6_T7_P12ihipStream_tbENKUlT_T0_E_clISt17integral_constantIbLb1EES15_EEDaS10_S11_EUlS10_E_NS1_11comp_targetILNS1_3genE0ELNS1_11target_archE4294967295ELNS1_3gpuE0ELNS1_3repE0EEENS1_30default_config_static_selectorELNS0_4arch9wavefront6targetE0EEEvT1_, .Lfunc_end14-_ZN7rocprim17ROCPRIM_400000_NS6detail17trampoline_kernelINS0_14default_configENS1_27scan_by_key_config_selectorImiEEZZNS1_16scan_by_key_implILNS1_25lookback_scan_determinismE0ELb0ES3_N6thrust23THRUST_200600_302600_NS18transform_iteratorI9row_indexNS9_17counting_iteratorImNS9_11use_defaultESD_SD_EESD_SD_EENS9_6detail15normal_iteratorINS9_10device_ptrIiEEEESK_iNS9_4plusIvEENS9_8equal_toIvEEiEE10hipError_tPvRmT2_T3_T4_T5_mT6_T7_P12ihipStream_tbENKUlT_T0_E_clISt17integral_constantIbLb1EES15_EEDaS10_S11_EUlS10_E_NS1_11comp_targetILNS1_3genE0ELNS1_11target_archE4294967295ELNS1_3gpuE0ELNS1_3repE0EEENS1_30default_config_static_selectorELNS0_4arch9wavefront6targetE0EEEvT1_
                                        ; -- End function
	.section	.AMDGPU.csdata,"",@progbits
; Kernel info:
; codeLenInByte = 0
; NumSgprs: 0
; NumVgprs: 0
; ScratchSize: 0
; MemoryBound: 0
; FloatMode: 240
; IeeeMode: 1
; LDSByteSize: 0 bytes/workgroup (compile time only)
; SGPRBlocks: 0
; VGPRBlocks: 0
; NumSGPRsForWavesPerEU: 1
; NumVGPRsForWavesPerEU: 1
; Occupancy: 16
; WaveLimiterHint : 0
; COMPUTE_PGM_RSRC2:SCRATCH_EN: 0
; COMPUTE_PGM_RSRC2:USER_SGPR: 15
; COMPUTE_PGM_RSRC2:TRAP_HANDLER: 0
; COMPUTE_PGM_RSRC2:TGID_X_EN: 1
; COMPUTE_PGM_RSRC2:TGID_Y_EN: 0
; COMPUTE_PGM_RSRC2:TGID_Z_EN: 0
; COMPUTE_PGM_RSRC2:TIDIG_COMP_CNT: 0
	.section	.text._ZN7rocprim17ROCPRIM_400000_NS6detail17trampoline_kernelINS0_14default_configENS1_27scan_by_key_config_selectorImiEEZZNS1_16scan_by_key_implILNS1_25lookback_scan_determinismE0ELb0ES3_N6thrust23THRUST_200600_302600_NS18transform_iteratorI9row_indexNS9_17counting_iteratorImNS9_11use_defaultESD_SD_EESD_SD_EENS9_6detail15normal_iteratorINS9_10device_ptrIiEEEESK_iNS9_4plusIvEENS9_8equal_toIvEEiEE10hipError_tPvRmT2_T3_T4_T5_mT6_T7_P12ihipStream_tbENKUlT_T0_E_clISt17integral_constantIbLb1EES15_EEDaS10_S11_EUlS10_E_NS1_11comp_targetILNS1_3genE10ELNS1_11target_archE1201ELNS1_3gpuE5ELNS1_3repE0EEENS1_30default_config_static_selectorELNS0_4arch9wavefront6targetE0EEEvT1_,"axG",@progbits,_ZN7rocprim17ROCPRIM_400000_NS6detail17trampoline_kernelINS0_14default_configENS1_27scan_by_key_config_selectorImiEEZZNS1_16scan_by_key_implILNS1_25lookback_scan_determinismE0ELb0ES3_N6thrust23THRUST_200600_302600_NS18transform_iteratorI9row_indexNS9_17counting_iteratorImNS9_11use_defaultESD_SD_EESD_SD_EENS9_6detail15normal_iteratorINS9_10device_ptrIiEEEESK_iNS9_4plusIvEENS9_8equal_toIvEEiEE10hipError_tPvRmT2_T3_T4_T5_mT6_T7_P12ihipStream_tbENKUlT_T0_E_clISt17integral_constantIbLb1EES15_EEDaS10_S11_EUlS10_E_NS1_11comp_targetILNS1_3genE10ELNS1_11target_archE1201ELNS1_3gpuE5ELNS1_3repE0EEENS1_30default_config_static_selectorELNS0_4arch9wavefront6targetE0EEEvT1_,comdat
	.protected	_ZN7rocprim17ROCPRIM_400000_NS6detail17trampoline_kernelINS0_14default_configENS1_27scan_by_key_config_selectorImiEEZZNS1_16scan_by_key_implILNS1_25lookback_scan_determinismE0ELb0ES3_N6thrust23THRUST_200600_302600_NS18transform_iteratorI9row_indexNS9_17counting_iteratorImNS9_11use_defaultESD_SD_EESD_SD_EENS9_6detail15normal_iteratorINS9_10device_ptrIiEEEESK_iNS9_4plusIvEENS9_8equal_toIvEEiEE10hipError_tPvRmT2_T3_T4_T5_mT6_T7_P12ihipStream_tbENKUlT_T0_E_clISt17integral_constantIbLb1EES15_EEDaS10_S11_EUlS10_E_NS1_11comp_targetILNS1_3genE10ELNS1_11target_archE1201ELNS1_3gpuE5ELNS1_3repE0EEENS1_30default_config_static_selectorELNS0_4arch9wavefront6targetE0EEEvT1_ ; -- Begin function _ZN7rocprim17ROCPRIM_400000_NS6detail17trampoline_kernelINS0_14default_configENS1_27scan_by_key_config_selectorImiEEZZNS1_16scan_by_key_implILNS1_25lookback_scan_determinismE0ELb0ES3_N6thrust23THRUST_200600_302600_NS18transform_iteratorI9row_indexNS9_17counting_iteratorImNS9_11use_defaultESD_SD_EESD_SD_EENS9_6detail15normal_iteratorINS9_10device_ptrIiEEEESK_iNS9_4plusIvEENS9_8equal_toIvEEiEE10hipError_tPvRmT2_T3_T4_T5_mT6_T7_P12ihipStream_tbENKUlT_T0_E_clISt17integral_constantIbLb1EES15_EEDaS10_S11_EUlS10_E_NS1_11comp_targetILNS1_3genE10ELNS1_11target_archE1201ELNS1_3gpuE5ELNS1_3repE0EEENS1_30default_config_static_selectorELNS0_4arch9wavefront6targetE0EEEvT1_
	.globl	_ZN7rocprim17ROCPRIM_400000_NS6detail17trampoline_kernelINS0_14default_configENS1_27scan_by_key_config_selectorImiEEZZNS1_16scan_by_key_implILNS1_25lookback_scan_determinismE0ELb0ES3_N6thrust23THRUST_200600_302600_NS18transform_iteratorI9row_indexNS9_17counting_iteratorImNS9_11use_defaultESD_SD_EESD_SD_EENS9_6detail15normal_iteratorINS9_10device_ptrIiEEEESK_iNS9_4plusIvEENS9_8equal_toIvEEiEE10hipError_tPvRmT2_T3_T4_T5_mT6_T7_P12ihipStream_tbENKUlT_T0_E_clISt17integral_constantIbLb1EES15_EEDaS10_S11_EUlS10_E_NS1_11comp_targetILNS1_3genE10ELNS1_11target_archE1201ELNS1_3gpuE5ELNS1_3repE0EEENS1_30default_config_static_selectorELNS0_4arch9wavefront6targetE0EEEvT1_
	.p2align	8
	.type	_ZN7rocprim17ROCPRIM_400000_NS6detail17trampoline_kernelINS0_14default_configENS1_27scan_by_key_config_selectorImiEEZZNS1_16scan_by_key_implILNS1_25lookback_scan_determinismE0ELb0ES3_N6thrust23THRUST_200600_302600_NS18transform_iteratorI9row_indexNS9_17counting_iteratorImNS9_11use_defaultESD_SD_EESD_SD_EENS9_6detail15normal_iteratorINS9_10device_ptrIiEEEESK_iNS9_4plusIvEENS9_8equal_toIvEEiEE10hipError_tPvRmT2_T3_T4_T5_mT6_T7_P12ihipStream_tbENKUlT_T0_E_clISt17integral_constantIbLb1EES15_EEDaS10_S11_EUlS10_E_NS1_11comp_targetILNS1_3genE10ELNS1_11target_archE1201ELNS1_3gpuE5ELNS1_3repE0EEENS1_30default_config_static_selectorELNS0_4arch9wavefront6targetE0EEEvT1_,@function
_ZN7rocprim17ROCPRIM_400000_NS6detail17trampoline_kernelINS0_14default_configENS1_27scan_by_key_config_selectorImiEEZZNS1_16scan_by_key_implILNS1_25lookback_scan_determinismE0ELb0ES3_N6thrust23THRUST_200600_302600_NS18transform_iteratorI9row_indexNS9_17counting_iteratorImNS9_11use_defaultESD_SD_EESD_SD_EENS9_6detail15normal_iteratorINS9_10device_ptrIiEEEESK_iNS9_4plusIvEENS9_8equal_toIvEEiEE10hipError_tPvRmT2_T3_T4_T5_mT6_T7_P12ihipStream_tbENKUlT_T0_E_clISt17integral_constantIbLb1EES15_EEDaS10_S11_EUlS10_E_NS1_11comp_targetILNS1_3genE10ELNS1_11target_archE1201ELNS1_3gpuE5ELNS1_3repE0EEENS1_30default_config_static_selectorELNS0_4arch9wavefront6targetE0EEEvT1_: ; @_ZN7rocprim17ROCPRIM_400000_NS6detail17trampoline_kernelINS0_14default_configENS1_27scan_by_key_config_selectorImiEEZZNS1_16scan_by_key_implILNS1_25lookback_scan_determinismE0ELb0ES3_N6thrust23THRUST_200600_302600_NS18transform_iteratorI9row_indexNS9_17counting_iteratorImNS9_11use_defaultESD_SD_EESD_SD_EENS9_6detail15normal_iteratorINS9_10device_ptrIiEEEESK_iNS9_4plusIvEENS9_8equal_toIvEEiEE10hipError_tPvRmT2_T3_T4_T5_mT6_T7_P12ihipStream_tbENKUlT_T0_E_clISt17integral_constantIbLb1EES15_EEDaS10_S11_EUlS10_E_NS1_11comp_targetILNS1_3genE10ELNS1_11target_archE1201ELNS1_3gpuE5ELNS1_3repE0EEENS1_30default_config_static_selectorELNS0_4arch9wavefront6targetE0EEEvT1_
; %bb.0:
	.section	.rodata,"a",@progbits
	.p2align	6, 0x0
	.amdhsa_kernel _ZN7rocprim17ROCPRIM_400000_NS6detail17trampoline_kernelINS0_14default_configENS1_27scan_by_key_config_selectorImiEEZZNS1_16scan_by_key_implILNS1_25lookback_scan_determinismE0ELb0ES3_N6thrust23THRUST_200600_302600_NS18transform_iteratorI9row_indexNS9_17counting_iteratorImNS9_11use_defaultESD_SD_EESD_SD_EENS9_6detail15normal_iteratorINS9_10device_ptrIiEEEESK_iNS9_4plusIvEENS9_8equal_toIvEEiEE10hipError_tPvRmT2_T3_T4_T5_mT6_T7_P12ihipStream_tbENKUlT_T0_E_clISt17integral_constantIbLb1EES15_EEDaS10_S11_EUlS10_E_NS1_11comp_targetILNS1_3genE10ELNS1_11target_archE1201ELNS1_3gpuE5ELNS1_3repE0EEENS1_30default_config_static_selectorELNS0_4arch9wavefront6targetE0EEEvT1_
		.amdhsa_group_segment_fixed_size 0
		.amdhsa_private_segment_fixed_size 0
		.amdhsa_kernarg_size 120
		.amdhsa_user_sgpr_count 15
		.amdhsa_user_sgpr_dispatch_ptr 0
		.amdhsa_user_sgpr_queue_ptr 0
		.amdhsa_user_sgpr_kernarg_segment_ptr 1
		.amdhsa_user_sgpr_dispatch_id 0
		.amdhsa_user_sgpr_private_segment_size 0
		.amdhsa_wavefront_size32 1
		.amdhsa_uses_dynamic_stack 0
		.amdhsa_enable_private_segment 0
		.amdhsa_system_sgpr_workgroup_id_x 1
		.amdhsa_system_sgpr_workgroup_id_y 0
		.amdhsa_system_sgpr_workgroup_id_z 0
		.amdhsa_system_sgpr_workgroup_info 0
		.amdhsa_system_vgpr_workitem_id 0
		.amdhsa_next_free_vgpr 1
		.amdhsa_next_free_sgpr 1
		.amdhsa_reserve_vcc 0
		.amdhsa_float_round_mode_32 0
		.amdhsa_float_round_mode_16_64 0
		.amdhsa_float_denorm_mode_32 3
		.amdhsa_float_denorm_mode_16_64 3
		.amdhsa_dx10_clamp 1
		.amdhsa_ieee_mode 1
		.amdhsa_fp16_overflow 0
		.amdhsa_workgroup_processor_mode 1
		.amdhsa_memory_ordered 1
		.amdhsa_forward_progress 0
		.amdhsa_shared_vgpr_count 0
		.amdhsa_exception_fp_ieee_invalid_op 0
		.amdhsa_exception_fp_denorm_src 0
		.amdhsa_exception_fp_ieee_div_zero 0
		.amdhsa_exception_fp_ieee_overflow 0
		.amdhsa_exception_fp_ieee_underflow 0
		.amdhsa_exception_fp_ieee_inexact 0
		.amdhsa_exception_int_div_zero 0
	.end_amdhsa_kernel
	.section	.text._ZN7rocprim17ROCPRIM_400000_NS6detail17trampoline_kernelINS0_14default_configENS1_27scan_by_key_config_selectorImiEEZZNS1_16scan_by_key_implILNS1_25lookback_scan_determinismE0ELb0ES3_N6thrust23THRUST_200600_302600_NS18transform_iteratorI9row_indexNS9_17counting_iteratorImNS9_11use_defaultESD_SD_EESD_SD_EENS9_6detail15normal_iteratorINS9_10device_ptrIiEEEESK_iNS9_4plusIvEENS9_8equal_toIvEEiEE10hipError_tPvRmT2_T3_T4_T5_mT6_T7_P12ihipStream_tbENKUlT_T0_E_clISt17integral_constantIbLb1EES15_EEDaS10_S11_EUlS10_E_NS1_11comp_targetILNS1_3genE10ELNS1_11target_archE1201ELNS1_3gpuE5ELNS1_3repE0EEENS1_30default_config_static_selectorELNS0_4arch9wavefront6targetE0EEEvT1_,"axG",@progbits,_ZN7rocprim17ROCPRIM_400000_NS6detail17trampoline_kernelINS0_14default_configENS1_27scan_by_key_config_selectorImiEEZZNS1_16scan_by_key_implILNS1_25lookback_scan_determinismE0ELb0ES3_N6thrust23THRUST_200600_302600_NS18transform_iteratorI9row_indexNS9_17counting_iteratorImNS9_11use_defaultESD_SD_EESD_SD_EENS9_6detail15normal_iteratorINS9_10device_ptrIiEEEESK_iNS9_4plusIvEENS9_8equal_toIvEEiEE10hipError_tPvRmT2_T3_T4_T5_mT6_T7_P12ihipStream_tbENKUlT_T0_E_clISt17integral_constantIbLb1EES15_EEDaS10_S11_EUlS10_E_NS1_11comp_targetILNS1_3genE10ELNS1_11target_archE1201ELNS1_3gpuE5ELNS1_3repE0EEENS1_30default_config_static_selectorELNS0_4arch9wavefront6targetE0EEEvT1_,comdat
.Lfunc_end15:
	.size	_ZN7rocprim17ROCPRIM_400000_NS6detail17trampoline_kernelINS0_14default_configENS1_27scan_by_key_config_selectorImiEEZZNS1_16scan_by_key_implILNS1_25lookback_scan_determinismE0ELb0ES3_N6thrust23THRUST_200600_302600_NS18transform_iteratorI9row_indexNS9_17counting_iteratorImNS9_11use_defaultESD_SD_EESD_SD_EENS9_6detail15normal_iteratorINS9_10device_ptrIiEEEESK_iNS9_4plusIvEENS9_8equal_toIvEEiEE10hipError_tPvRmT2_T3_T4_T5_mT6_T7_P12ihipStream_tbENKUlT_T0_E_clISt17integral_constantIbLb1EES15_EEDaS10_S11_EUlS10_E_NS1_11comp_targetILNS1_3genE10ELNS1_11target_archE1201ELNS1_3gpuE5ELNS1_3repE0EEENS1_30default_config_static_selectorELNS0_4arch9wavefront6targetE0EEEvT1_, .Lfunc_end15-_ZN7rocprim17ROCPRIM_400000_NS6detail17trampoline_kernelINS0_14default_configENS1_27scan_by_key_config_selectorImiEEZZNS1_16scan_by_key_implILNS1_25lookback_scan_determinismE0ELb0ES3_N6thrust23THRUST_200600_302600_NS18transform_iteratorI9row_indexNS9_17counting_iteratorImNS9_11use_defaultESD_SD_EESD_SD_EENS9_6detail15normal_iteratorINS9_10device_ptrIiEEEESK_iNS9_4plusIvEENS9_8equal_toIvEEiEE10hipError_tPvRmT2_T3_T4_T5_mT6_T7_P12ihipStream_tbENKUlT_T0_E_clISt17integral_constantIbLb1EES15_EEDaS10_S11_EUlS10_E_NS1_11comp_targetILNS1_3genE10ELNS1_11target_archE1201ELNS1_3gpuE5ELNS1_3repE0EEENS1_30default_config_static_selectorELNS0_4arch9wavefront6targetE0EEEvT1_
                                        ; -- End function
	.section	.AMDGPU.csdata,"",@progbits
; Kernel info:
; codeLenInByte = 0
; NumSgprs: 0
; NumVgprs: 0
; ScratchSize: 0
; MemoryBound: 0
; FloatMode: 240
; IeeeMode: 1
; LDSByteSize: 0 bytes/workgroup (compile time only)
; SGPRBlocks: 0
; VGPRBlocks: 0
; NumSGPRsForWavesPerEU: 1
; NumVGPRsForWavesPerEU: 1
; Occupancy: 16
; WaveLimiterHint : 0
; COMPUTE_PGM_RSRC2:SCRATCH_EN: 0
; COMPUTE_PGM_RSRC2:USER_SGPR: 15
; COMPUTE_PGM_RSRC2:TRAP_HANDLER: 0
; COMPUTE_PGM_RSRC2:TGID_X_EN: 1
; COMPUTE_PGM_RSRC2:TGID_Y_EN: 0
; COMPUTE_PGM_RSRC2:TGID_Z_EN: 0
; COMPUTE_PGM_RSRC2:TIDIG_COMP_CNT: 0
	.section	.text._ZN7rocprim17ROCPRIM_400000_NS6detail17trampoline_kernelINS0_14default_configENS1_27scan_by_key_config_selectorImiEEZZNS1_16scan_by_key_implILNS1_25lookback_scan_determinismE0ELb0ES3_N6thrust23THRUST_200600_302600_NS18transform_iteratorI9row_indexNS9_17counting_iteratorImNS9_11use_defaultESD_SD_EESD_SD_EENS9_6detail15normal_iteratorINS9_10device_ptrIiEEEESK_iNS9_4plusIvEENS9_8equal_toIvEEiEE10hipError_tPvRmT2_T3_T4_T5_mT6_T7_P12ihipStream_tbENKUlT_T0_E_clISt17integral_constantIbLb1EES15_EEDaS10_S11_EUlS10_E_NS1_11comp_targetILNS1_3genE5ELNS1_11target_archE942ELNS1_3gpuE9ELNS1_3repE0EEENS1_30default_config_static_selectorELNS0_4arch9wavefront6targetE0EEEvT1_,"axG",@progbits,_ZN7rocprim17ROCPRIM_400000_NS6detail17trampoline_kernelINS0_14default_configENS1_27scan_by_key_config_selectorImiEEZZNS1_16scan_by_key_implILNS1_25lookback_scan_determinismE0ELb0ES3_N6thrust23THRUST_200600_302600_NS18transform_iteratorI9row_indexNS9_17counting_iteratorImNS9_11use_defaultESD_SD_EESD_SD_EENS9_6detail15normal_iteratorINS9_10device_ptrIiEEEESK_iNS9_4plusIvEENS9_8equal_toIvEEiEE10hipError_tPvRmT2_T3_T4_T5_mT6_T7_P12ihipStream_tbENKUlT_T0_E_clISt17integral_constantIbLb1EES15_EEDaS10_S11_EUlS10_E_NS1_11comp_targetILNS1_3genE5ELNS1_11target_archE942ELNS1_3gpuE9ELNS1_3repE0EEENS1_30default_config_static_selectorELNS0_4arch9wavefront6targetE0EEEvT1_,comdat
	.protected	_ZN7rocprim17ROCPRIM_400000_NS6detail17trampoline_kernelINS0_14default_configENS1_27scan_by_key_config_selectorImiEEZZNS1_16scan_by_key_implILNS1_25lookback_scan_determinismE0ELb0ES3_N6thrust23THRUST_200600_302600_NS18transform_iteratorI9row_indexNS9_17counting_iteratorImNS9_11use_defaultESD_SD_EESD_SD_EENS9_6detail15normal_iteratorINS9_10device_ptrIiEEEESK_iNS9_4plusIvEENS9_8equal_toIvEEiEE10hipError_tPvRmT2_T3_T4_T5_mT6_T7_P12ihipStream_tbENKUlT_T0_E_clISt17integral_constantIbLb1EES15_EEDaS10_S11_EUlS10_E_NS1_11comp_targetILNS1_3genE5ELNS1_11target_archE942ELNS1_3gpuE9ELNS1_3repE0EEENS1_30default_config_static_selectorELNS0_4arch9wavefront6targetE0EEEvT1_ ; -- Begin function _ZN7rocprim17ROCPRIM_400000_NS6detail17trampoline_kernelINS0_14default_configENS1_27scan_by_key_config_selectorImiEEZZNS1_16scan_by_key_implILNS1_25lookback_scan_determinismE0ELb0ES3_N6thrust23THRUST_200600_302600_NS18transform_iteratorI9row_indexNS9_17counting_iteratorImNS9_11use_defaultESD_SD_EESD_SD_EENS9_6detail15normal_iteratorINS9_10device_ptrIiEEEESK_iNS9_4plusIvEENS9_8equal_toIvEEiEE10hipError_tPvRmT2_T3_T4_T5_mT6_T7_P12ihipStream_tbENKUlT_T0_E_clISt17integral_constantIbLb1EES15_EEDaS10_S11_EUlS10_E_NS1_11comp_targetILNS1_3genE5ELNS1_11target_archE942ELNS1_3gpuE9ELNS1_3repE0EEENS1_30default_config_static_selectorELNS0_4arch9wavefront6targetE0EEEvT1_
	.globl	_ZN7rocprim17ROCPRIM_400000_NS6detail17trampoline_kernelINS0_14default_configENS1_27scan_by_key_config_selectorImiEEZZNS1_16scan_by_key_implILNS1_25lookback_scan_determinismE0ELb0ES3_N6thrust23THRUST_200600_302600_NS18transform_iteratorI9row_indexNS9_17counting_iteratorImNS9_11use_defaultESD_SD_EESD_SD_EENS9_6detail15normal_iteratorINS9_10device_ptrIiEEEESK_iNS9_4plusIvEENS9_8equal_toIvEEiEE10hipError_tPvRmT2_T3_T4_T5_mT6_T7_P12ihipStream_tbENKUlT_T0_E_clISt17integral_constantIbLb1EES15_EEDaS10_S11_EUlS10_E_NS1_11comp_targetILNS1_3genE5ELNS1_11target_archE942ELNS1_3gpuE9ELNS1_3repE0EEENS1_30default_config_static_selectorELNS0_4arch9wavefront6targetE0EEEvT1_
	.p2align	8
	.type	_ZN7rocprim17ROCPRIM_400000_NS6detail17trampoline_kernelINS0_14default_configENS1_27scan_by_key_config_selectorImiEEZZNS1_16scan_by_key_implILNS1_25lookback_scan_determinismE0ELb0ES3_N6thrust23THRUST_200600_302600_NS18transform_iteratorI9row_indexNS9_17counting_iteratorImNS9_11use_defaultESD_SD_EESD_SD_EENS9_6detail15normal_iteratorINS9_10device_ptrIiEEEESK_iNS9_4plusIvEENS9_8equal_toIvEEiEE10hipError_tPvRmT2_T3_T4_T5_mT6_T7_P12ihipStream_tbENKUlT_T0_E_clISt17integral_constantIbLb1EES15_EEDaS10_S11_EUlS10_E_NS1_11comp_targetILNS1_3genE5ELNS1_11target_archE942ELNS1_3gpuE9ELNS1_3repE0EEENS1_30default_config_static_selectorELNS0_4arch9wavefront6targetE0EEEvT1_,@function
_ZN7rocprim17ROCPRIM_400000_NS6detail17trampoline_kernelINS0_14default_configENS1_27scan_by_key_config_selectorImiEEZZNS1_16scan_by_key_implILNS1_25lookback_scan_determinismE0ELb0ES3_N6thrust23THRUST_200600_302600_NS18transform_iteratorI9row_indexNS9_17counting_iteratorImNS9_11use_defaultESD_SD_EESD_SD_EENS9_6detail15normal_iteratorINS9_10device_ptrIiEEEESK_iNS9_4plusIvEENS9_8equal_toIvEEiEE10hipError_tPvRmT2_T3_T4_T5_mT6_T7_P12ihipStream_tbENKUlT_T0_E_clISt17integral_constantIbLb1EES15_EEDaS10_S11_EUlS10_E_NS1_11comp_targetILNS1_3genE5ELNS1_11target_archE942ELNS1_3gpuE9ELNS1_3repE0EEENS1_30default_config_static_selectorELNS0_4arch9wavefront6targetE0EEEvT1_: ; @_ZN7rocprim17ROCPRIM_400000_NS6detail17trampoline_kernelINS0_14default_configENS1_27scan_by_key_config_selectorImiEEZZNS1_16scan_by_key_implILNS1_25lookback_scan_determinismE0ELb0ES3_N6thrust23THRUST_200600_302600_NS18transform_iteratorI9row_indexNS9_17counting_iteratorImNS9_11use_defaultESD_SD_EESD_SD_EENS9_6detail15normal_iteratorINS9_10device_ptrIiEEEESK_iNS9_4plusIvEENS9_8equal_toIvEEiEE10hipError_tPvRmT2_T3_T4_T5_mT6_T7_P12ihipStream_tbENKUlT_T0_E_clISt17integral_constantIbLb1EES15_EEDaS10_S11_EUlS10_E_NS1_11comp_targetILNS1_3genE5ELNS1_11target_archE942ELNS1_3gpuE9ELNS1_3repE0EEENS1_30default_config_static_selectorELNS0_4arch9wavefront6targetE0EEEvT1_
; %bb.0:
	.section	.rodata,"a",@progbits
	.p2align	6, 0x0
	.amdhsa_kernel _ZN7rocprim17ROCPRIM_400000_NS6detail17trampoline_kernelINS0_14default_configENS1_27scan_by_key_config_selectorImiEEZZNS1_16scan_by_key_implILNS1_25lookback_scan_determinismE0ELb0ES3_N6thrust23THRUST_200600_302600_NS18transform_iteratorI9row_indexNS9_17counting_iteratorImNS9_11use_defaultESD_SD_EESD_SD_EENS9_6detail15normal_iteratorINS9_10device_ptrIiEEEESK_iNS9_4plusIvEENS9_8equal_toIvEEiEE10hipError_tPvRmT2_T3_T4_T5_mT6_T7_P12ihipStream_tbENKUlT_T0_E_clISt17integral_constantIbLb1EES15_EEDaS10_S11_EUlS10_E_NS1_11comp_targetILNS1_3genE5ELNS1_11target_archE942ELNS1_3gpuE9ELNS1_3repE0EEENS1_30default_config_static_selectorELNS0_4arch9wavefront6targetE0EEEvT1_
		.amdhsa_group_segment_fixed_size 0
		.amdhsa_private_segment_fixed_size 0
		.amdhsa_kernarg_size 120
		.amdhsa_user_sgpr_count 15
		.amdhsa_user_sgpr_dispatch_ptr 0
		.amdhsa_user_sgpr_queue_ptr 0
		.amdhsa_user_sgpr_kernarg_segment_ptr 1
		.amdhsa_user_sgpr_dispatch_id 0
		.amdhsa_user_sgpr_private_segment_size 0
		.amdhsa_wavefront_size32 1
		.amdhsa_uses_dynamic_stack 0
		.amdhsa_enable_private_segment 0
		.amdhsa_system_sgpr_workgroup_id_x 1
		.amdhsa_system_sgpr_workgroup_id_y 0
		.amdhsa_system_sgpr_workgroup_id_z 0
		.amdhsa_system_sgpr_workgroup_info 0
		.amdhsa_system_vgpr_workitem_id 0
		.amdhsa_next_free_vgpr 1
		.amdhsa_next_free_sgpr 1
		.amdhsa_reserve_vcc 0
		.amdhsa_float_round_mode_32 0
		.amdhsa_float_round_mode_16_64 0
		.amdhsa_float_denorm_mode_32 3
		.amdhsa_float_denorm_mode_16_64 3
		.amdhsa_dx10_clamp 1
		.amdhsa_ieee_mode 1
		.amdhsa_fp16_overflow 0
		.amdhsa_workgroup_processor_mode 1
		.amdhsa_memory_ordered 1
		.amdhsa_forward_progress 0
		.amdhsa_shared_vgpr_count 0
		.amdhsa_exception_fp_ieee_invalid_op 0
		.amdhsa_exception_fp_denorm_src 0
		.amdhsa_exception_fp_ieee_div_zero 0
		.amdhsa_exception_fp_ieee_overflow 0
		.amdhsa_exception_fp_ieee_underflow 0
		.amdhsa_exception_fp_ieee_inexact 0
		.amdhsa_exception_int_div_zero 0
	.end_amdhsa_kernel
	.section	.text._ZN7rocprim17ROCPRIM_400000_NS6detail17trampoline_kernelINS0_14default_configENS1_27scan_by_key_config_selectorImiEEZZNS1_16scan_by_key_implILNS1_25lookback_scan_determinismE0ELb0ES3_N6thrust23THRUST_200600_302600_NS18transform_iteratorI9row_indexNS9_17counting_iteratorImNS9_11use_defaultESD_SD_EESD_SD_EENS9_6detail15normal_iteratorINS9_10device_ptrIiEEEESK_iNS9_4plusIvEENS9_8equal_toIvEEiEE10hipError_tPvRmT2_T3_T4_T5_mT6_T7_P12ihipStream_tbENKUlT_T0_E_clISt17integral_constantIbLb1EES15_EEDaS10_S11_EUlS10_E_NS1_11comp_targetILNS1_3genE5ELNS1_11target_archE942ELNS1_3gpuE9ELNS1_3repE0EEENS1_30default_config_static_selectorELNS0_4arch9wavefront6targetE0EEEvT1_,"axG",@progbits,_ZN7rocprim17ROCPRIM_400000_NS6detail17trampoline_kernelINS0_14default_configENS1_27scan_by_key_config_selectorImiEEZZNS1_16scan_by_key_implILNS1_25lookback_scan_determinismE0ELb0ES3_N6thrust23THRUST_200600_302600_NS18transform_iteratorI9row_indexNS9_17counting_iteratorImNS9_11use_defaultESD_SD_EESD_SD_EENS9_6detail15normal_iteratorINS9_10device_ptrIiEEEESK_iNS9_4plusIvEENS9_8equal_toIvEEiEE10hipError_tPvRmT2_T3_T4_T5_mT6_T7_P12ihipStream_tbENKUlT_T0_E_clISt17integral_constantIbLb1EES15_EEDaS10_S11_EUlS10_E_NS1_11comp_targetILNS1_3genE5ELNS1_11target_archE942ELNS1_3gpuE9ELNS1_3repE0EEENS1_30default_config_static_selectorELNS0_4arch9wavefront6targetE0EEEvT1_,comdat
.Lfunc_end16:
	.size	_ZN7rocprim17ROCPRIM_400000_NS6detail17trampoline_kernelINS0_14default_configENS1_27scan_by_key_config_selectorImiEEZZNS1_16scan_by_key_implILNS1_25lookback_scan_determinismE0ELb0ES3_N6thrust23THRUST_200600_302600_NS18transform_iteratorI9row_indexNS9_17counting_iteratorImNS9_11use_defaultESD_SD_EESD_SD_EENS9_6detail15normal_iteratorINS9_10device_ptrIiEEEESK_iNS9_4plusIvEENS9_8equal_toIvEEiEE10hipError_tPvRmT2_T3_T4_T5_mT6_T7_P12ihipStream_tbENKUlT_T0_E_clISt17integral_constantIbLb1EES15_EEDaS10_S11_EUlS10_E_NS1_11comp_targetILNS1_3genE5ELNS1_11target_archE942ELNS1_3gpuE9ELNS1_3repE0EEENS1_30default_config_static_selectorELNS0_4arch9wavefront6targetE0EEEvT1_, .Lfunc_end16-_ZN7rocprim17ROCPRIM_400000_NS6detail17trampoline_kernelINS0_14default_configENS1_27scan_by_key_config_selectorImiEEZZNS1_16scan_by_key_implILNS1_25lookback_scan_determinismE0ELb0ES3_N6thrust23THRUST_200600_302600_NS18transform_iteratorI9row_indexNS9_17counting_iteratorImNS9_11use_defaultESD_SD_EESD_SD_EENS9_6detail15normal_iteratorINS9_10device_ptrIiEEEESK_iNS9_4plusIvEENS9_8equal_toIvEEiEE10hipError_tPvRmT2_T3_T4_T5_mT6_T7_P12ihipStream_tbENKUlT_T0_E_clISt17integral_constantIbLb1EES15_EEDaS10_S11_EUlS10_E_NS1_11comp_targetILNS1_3genE5ELNS1_11target_archE942ELNS1_3gpuE9ELNS1_3repE0EEENS1_30default_config_static_selectorELNS0_4arch9wavefront6targetE0EEEvT1_
                                        ; -- End function
	.section	.AMDGPU.csdata,"",@progbits
; Kernel info:
; codeLenInByte = 0
; NumSgprs: 0
; NumVgprs: 0
; ScratchSize: 0
; MemoryBound: 0
; FloatMode: 240
; IeeeMode: 1
; LDSByteSize: 0 bytes/workgroup (compile time only)
; SGPRBlocks: 0
; VGPRBlocks: 0
; NumSGPRsForWavesPerEU: 1
; NumVGPRsForWavesPerEU: 1
; Occupancy: 16
; WaveLimiterHint : 0
; COMPUTE_PGM_RSRC2:SCRATCH_EN: 0
; COMPUTE_PGM_RSRC2:USER_SGPR: 15
; COMPUTE_PGM_RSRC2:TRAP_HANDLER: 0
; COMPUTE_PGM_RSRC2:TGID_X_EN: 1
; COMPUTE_PGM_RSRC2:TGID_Y_EN: 0
; COMPUTE_PGM_RSRC2:TGID_Z_EN: 0
; COMPUTE_PGM_RSRC2:TIDIG_COMP_CNT: 0
	.section	.text._ZN7rocprim17ROCPRIM_400000_NS6detail17trampoline_kernelINS0_14default_configENS1_27scan_by_key_config_selectorImiEEZZNS1_16scan_by_key_implILNS1_25lookback_scan_determinismE0ELb0ES3_N6thrust23THRUST_200600_302600_NS18transform_iteratorI9row_indexNS9_17counting_iteratorImNS9_11use_defaultESD_SD_EESD_SD_EENS9_6detail15normal_iteratorINS9_10device_ptrIiEEEESK_iNS9_4plusIvEENS9_8equal_toIvEEiEE10hipError_tPvRmT2_T3_T4_T5_mT6_T7_P12ihipStream_tbENKUlT_T0_E_clISt17integral_constantIbLb1EES15_EEDaS10_S11_EUlS10_E_NS1_11comp_targetILNS1_3genE4ELNS1_11target_archE910ELNS1_3gpuE8ELNS1_3repE0EEENS1_30default_config_static_selectorELNS0_4arch9wavefront6targetE0EEEvT1_,"axG",@progbits,_ZN7rocprim17ROCPRIM_400000_NS6detail17trampoline_kernelINS0_14default_configENS1_27scan_by_key_config_selectorImiEEZZNS1_16scan_by_key_implILNS1_25lookback_scan_determinismE0ELb0ES3_N6thrust23THRUST_200600_302600_NS18transform_iteratorI9row_indexNS9_17counting_iteratorImNS9_11use_defaultESD_SD_EESD_SD_EENS9_6detail15normal_iteratorINS9_10device_ptrIiEEEESK_iNS9_4plusIvEENS9_8equal_toIvEEiEE10hipError_tPvRmT2_T3_T4_T5_mT6_T7_P12ihipStream_tbENKUlT_T0_E_clISt17integral_constantIbLb1EES15_EEDaS10_S11_EUlS10_E_NS1_11comp_targetILNS1_3genE4ELNS1_11target_archE910ELNS1_3gpuE8ELNS1_3repE0EEENS1_30default_config_static_selectorELNS0_4arch9wavefront6targetE0EEEvT1_,comdat
	.protected	_ZN7rocprim17ROCPRIM_400000_NS6detail17trampoline_kernelINS0_14default_configENS1_27scan_by_key_config_selectorImiEEZZNS1_16scan_by_key_implILNS1_25lookback_scan_determinismE0ELb0ES3_N6thrust23THRUST_200600_302600_NS18transform_iteratorI9row_indexNS9_17counting_iteratorImNS9_11use_defaultESD_SD_EESD_SD_EENS9_6detail15normal_iteratorINS9_10device_ptrIiEEEESK_iNS9_4plusIvEENS9_8equal_toIvEEiEE10hipError_tPvRmT2_T3_T4_T5_mT6_T7_P12ihipStream_tbENKUlT_T0_E_clISt17integral_constantIbLb1EES15_EEDaS10_S11_EUlS10_E_NS1_11comp_targetILNS1_3genE4ELNS1_11target_archE910ELNS1_3gpuE8ELNS1_3repE0EEENS1_30default_config_static_selectorELNS0_4arch9wavefront6targetE0EEEvT1_ ; -- Begin function _ZN7rocprim17ROCPRIM_400000_NS6detail17trampoline_kernelINS0_14default_configENS1_27scan_by_key_config_selectorImiEEZZNS1_16scan_by_key_implILNS1_25lookback_scan_determinismE0ELb0ES3_N6thrust23THRUST_200600_302600_NS18transform_iteratorI9row_indexNS9_17counting_iteratorImNS9_11use_defaultESD_SD_EESD_SD_EENS9_6detail15normal_iteratorINS9_10device_ptrIiEEEESK_iNS9_4plusIvEENS9_8equal_toIvEEiEE10hipError_tPvRmT2_T3_T4_T5_mT6_T7_P12ihipStream_tbENKUlT_T0_E_clISt17integral_constantIbLb1EES15_EEDaS10_S11_EUlS10_E_NS1_11comp_targetILNS1_3genE4ELNS1_11target_archE910ELNS1_3gpuE8ELNS1_3repE0EEENS1_30default_config_static_selectorELNS0_4arch9wavefront6targetE0EEEvT1_
	.globl	_ZN7rocprim17ROCPRIM_400000_NS6detail17trampoline_kernelINS0_14default_configENS1_27scan_by_key_config_selectorImiEEZZNS1_16scan_by_key_implILNS1_25lookback_scan_determinismE0ELb0ES3_N6thrust23THRUST_200600_302600_NS18transform_iteratorI9row_indexNS9_17counting_iteratorImNS9_11use_defaultESD_SD_EESD_SD_EENS9_6detail15normal_iteratorINS9_10device_ptrIiEEEESK_iNS9_4plusIvEENS9_8equal_toIvEEiEE10hipError_tPvRmT2_T3_T4_T5_mT6_T7_P12ihipStream_tbENKUlT_T0_E_clISt17integral_constantIbLb1EES15_EEDaS10_S11_EUlS10_E_NS1_11comp_targetILNS1_3genE4ELNS1_11target_archE910ELNS1_3gpuE8ELNS1_3repE0EEENS1_30default_config_static_selectorELNS0_4arch9wavefront6targetE0EEEvT1_
	.p2align	8
	.type	_ZN7rocprim17ROCPRIM_400000_NS6detail17trampoline_kernelINS0_14default_configENS1_27scan_by_key_config_selectorImiEEZZNS1_16scan_by_key_implILNS1_25lookback_scan_determinismE0ELb0ES3_N6thrust23THRUST_200600_302600_NS18transform_iteratorI9row_indexNS9_17counting_iteratorImNS9_11use_defaultESD_SD_EESD_SD_EENS9_6detail15normal_iteratorINS9_10device_ptrIiEEEESK_iNS9_4plusIvEENS9_8equal_toIvEEiEE10hipError_tPvRmT2_T3_T4_T5_mT6_T7_P12ihipStream_tbENKUlT_T0_E_clISt17integral_constantIbLb1EES15_EEDaS10_S11_EUlS10_E_NS1_11comp_targetILNS1_3genE4ELNS1_11target_archE910ELNS1_3gpuE8ELNS1_3repE0EEENS1_30default_config_static_selectorELNS0_4arch9wavefront6targetE0EEEvT1_,@function
_ZN7rocprim17ROCPRIM_400000_NS6detail17trampoline_kernelINS0_14default_configENS1_27scan_by_key_config_selectorImiEEZZNS1_16scan_by_key_implILNS1_25lookback_scan_determinismE0ELb0ES3_N6thrust23THRUST_200600_302600_NS18transform_iteratorI9row_indexNS9_17counting_iteratorImNS9_11use_defaultESD_SD_EESD_SD_EENS9_6detail15normal_iteratorINS9_10device_ptrIiEEEESK_iNS9_4plusIvEENS9_8equal_toIvEEiEE10hipError_tPvRmT2_T3_T4_T5_mT6_T7_P12ihipStream_tbENKUlT_T0_E_clISt17integral_constantIbLb1EES15_EEDaS10_S11_EUlS10_E_NS1_11comp_targetILNS1_3genE4ELNS1_11target_archE910ELNS1_3gpuE8ELNS1_3repE0EEENS1_30default_config_static_selectorELNS0_4arch9wavefront6targetE0EEEvT1_: ; @_ZN7rocprim17ROCPRIM_400000_NS6detail17trampoline_kernelINS0_14default_configENS1_27scan_by_key_config_selectorImiEEZZNS1_16scan_by_key_implILNS1_25lookback_scan_determinismE0ELb0ES3_N6thrust23THRUST_200600_302600_NS18transform_iteratorI9row_indexNS9_17counting_iteratorImNS9_11use_defaultESD_SD_EESD_SD_EENS9_6detail15normal_iteratorINS9_10device_ptrIiEEEESK_iNS9_4plusIvEENS9_8equal_toIvEEiEE10hipError_tPvRmT2_T3_T4_T5_mT6_T7_P12ihipStream_tbENKUlT_T0_E_clISt17integral_constantIbLb1EES15_EEDaS10_S11_EUlS10_E_NS1_11comp_targetILNS1_3genE4ELNS1_11target_archE910ELNS1_3gpuE8ELNS1_3repE0EEENS1_30default_config_static_selectorELNS0_4arch9wavefront6targetE0EEEvT1_
; %bb.0:
	.section	.rodata,"a",@progbits
	.p2align	6, 0x0
	.amdhsa_kernel _ZN7rocprim17ROCPRIM_400000_NS6detail17trampoline_kernelINS0_14default_configENS1_27scan_by_key_config_selectorImiEEZZNS1_16scan_by_key_implILNS1_25lookback_scan_determinismE0ELb0ES3_N6thrust23THRUST_200600_302600_NS18transform_iteratorI9row_indexNS9_17counting_iteratorImNS9_11use_defaultESD_SD_EESD_SD_EENS9_6detail15normal_iteratorINS9_10device_ptrIiEEEESK_iNS9_4plusIvEENS9_8equal_toIvEEiEE10hipError_tPvRmT2_T3_T4_T5_mT6_T7_P12ihipStream_tbENKUlT_T0_E_clISt17integral_constantIbLb1EES15_EEDaS10_S11_EUlS10_E_NS1_11comp_targetILNS1_3genE4ELNS1_11target_archE910ELNS1_3gpuE8ELNS1_3repE0EEENS1_30default_config_static_selectorELNS0_4arch9wavefront6targetE0EEEvT1_
		.amdhsa_group_segment_fixed_size 0
		.amdhsa_private_segment_fixed_size 0
		.amdhsa_kernarg_size 120
		.amdhsa_user_sgpr_count 15
		.amdhsa_user_sgpr_dispatch_ptr 0
		.amdhsa_user_sgpr_queue_ptr 0
		.amdhsa_user_sgpr_kernarg_segment_ptr 1
		.amdhsa_user_sgpr_dispatch_id 0
		.amdhsa_user_sgpr_private_segment_size 0
		.amdhsa_wavefront_size32 1
		.amdhsa_uses_dynamic_stack 0
		.amdhsa_enable_private_segment 0
		.amdhsa_system_sgpr_workgroup_id_x 1
		.amdhsa_system_sgpr_workgroup_id_y 0
		.amdhsa_system_sgpr_workgroup_id_z 0
		.amdhsa_system_sgpr_workgroup_info 0
		.amdhsa_system_vgpr_workitem_id 0
		.amdhsa_next_free_vgpr 1
		.amdhsa_next_free_sgpr 1
		.amdhsa_reserve_vcc 0
		.amdhsa_float_round_mode_32 0
		.amdhsa_float_round_mode_16_64 0
		.amdhsa_float_denorm_mode_32 3
		.amdhsa_float_denorm_mode_16_64 3
		.amdhsa_dx10_clamp 1
		.amdhsa_ieee_mode 1
		.amdhsa_fp16_overflow 0
		.amdhsa_workgroup_processor_mode 1
		.amdhsa_memory_ordered 1
		.amdhsa_forward_progress 0
		.amdhsa_shared_vgpr_count 0
		.amdhsa_exception_fp_ieee_invalid_op 0
		.amdhsa_exception_fp_denorm_src 0
		.amdhsa_exception_fp_ieee_div_zero 0
		.amdhsa_exception_fp_ieee_overflow 0
		.amdhsa_exception_fp_ieee_underflow 0
		.amdhsa_exception_fp_ieee_inexact 0
		.amdhsa_exception_int_div_zero 0
	.end_amdhsa_kernel
	.section	.text._ZN7rocprim17ROCPRIM_400000_NS6detail17trampoline_kernelINS0_14default_configENS1_27scan_by_key_config_selectorImiEEZZNS1_16scan_by_key_implILNS1_25lookback_scan_determinismE0ELb0ES3_N6thrust23THRUST_200600_302600_NS18transform_iteratorI9row_indexNS9_17counting_iteratorImNS9_11use_defaultESD_SD_EESD_SD_EENS9_6detail15normal_iteratorINS9_10device_ptrIiEEEESK_iNS9_4plusIvEENS9_8equal_toIvEEiEE10hipError_tPvRmT2_T3_T4_T5_mT6_T7_P12ihipStream_tbENKUlT_T0_E_clISt17integral_constantIbLb1EES15_EEDaS10_S11_EUlS10_E_NS1_11comp_targetILNS1_3genE4ELNS1_11target_archE910ELNS1_3gpuE8ELNS1_3repE0EEENS1_30default_config_static_selectorELNS0_4arch9wavefront6targetE0EEEvT1_,"axG",@progbits,_ZN7rocprim17ROCPRIM_400000_NS6detail17trampoline_kernelINS0_14default_configENS1_27scan_by_key_config_selectorImiEEZZNS1_16scan_by_key_implILNS1_25lookback_scan_determinismE0ELb0ES3_N6thrust23THRUST_200600_302600_NS18transform_iteratorI9row_indexNS9_17counting_iteratorImNS9_11use_defaultESD_SD_EESD_SD_EENS9_6detail15normal_iteratorINS9_10device_ptrIiEEEESK_iNS9_4plusIvEENS9_8equal_toIvEEiEE10hipError_tPvRmT2_T3_T4_T5_mT6_T7_P12ihipStream_tbENKUlT_T0_E_clISt17integral_constantIbLb1EES15_EEDaS10_S11_EUlS10_E_NS1_11comp_targetILNS1_3genE4ELNS1_11target_archE910ELNS1_3gpuE8ELNS1_3repE0EEENS1_30default_config_static_selectorELNS0_4arch9wavefront6targetE0EEEvT1_,comdat
.Lfunc_end17:
	.size	_ZN7rocprim17ROCPRIM_400000_NS6detail17trampoline_kernelINS0_14default_configENS1_27scan_by_key_config_selectorImiEEZZNS1_16scan_by_key_implILNS1_25lookback_scan_determinismE0ELb0ES3_N6thrust23THRUST_200600_302600_NS18transform_iteratorI9row_indexNS9_17counting_iteratorImNS9_11use_defaultESD_SD_EESD_SD_EENS9_6detail15normal_iteratorINS9_10device_ptrIiEEEESK_iNS9_4plusIvEENS9_8equal_toIvEEiEE10hipError_tPvRmT2_T3_T4_T5_mT6_T7_P12ihipStream_tbENKUlT_T0_E_clISt17integral_constantIbLb1EES15_EEDaS10_S11_EUlS10_E_NS1_11comp_targetILNS1_3genE4ELNS1_11target_archE910ELNS1_3gpuE8ELNS1_3repE0EEENS1_30default_config_static_selectorELNS0_4arch9wavefront6targetE0EEEvT1_, .Lfunc_end17-_ZN7rocprim17ROCPRIM_400000_NS6detail17trampoline_kernelINS0_14default_configENS1_27scan_by_key_config_selectorImiEEZZNS1_16scan_by_key_implILNS1_25lookback_scan_determinismE0ELb0ES3_N6thrust23THRUST_200600_302600_NS18transform_iteratorI9row_indexNS9_17counting_iteratorImNS9_11use_defaultESD_SD_EESD_SD_EENS9_6detail15normal_iteratorINS9_10device_ptrIiEEEESK_iNS9_4plusIvEENS9_8equal_toIvEEiEE10hipError_tPvRmT2_T3_T4_T5_mT6_T7_P12ihipStream_tbENKUlT_T0_E_clISt17integral_constantIbLb1EES15_EEDaS10_S11_EUlS10_E_NS1_11comp_targetILNS1_3genE4ELNS1_11target_archE910ELNS1_3gpuE8ELNS1_3repE0EEENS1_30default_config_static_selectorELNS0_4arch9wavefront6targetE0EEEvT1_
                                        ; -- End function
	.section	.AMDGPU.csdata,"",@progbits
; Kernel info:
; codeLenInByte = 0
; NumSgprs: 0
; NumVgprs: 0
; ScratchSize: 0
; MemoryBound: 0
; FloatMode: 240
; IeeeMode: 1
; LDSByteSize: 0 bytes/workgroup (compile time only)
; SGPRBlocks: 0
; VGPRBlocks: 0
; NumSGPRsForWavesPerEU: 1
; NumVGPRsForWavesPerEU: 1
; Occupancy: 16
; WaveLimiterHint : 0
; COMPUTE_PGM_RSRC2:SCRATCH_EN: 0
; COMPUTE_PGM_RSRC2:USER_SGPR: 15
; COMPUTE_PGM_RSRC2:TRAP_HANDLER: 0
; COMPUTE_PGM_RSRC2:TGID_X_EN: 1
; COMPUTE_PGM_RSRC2:TGID_Y_EN: 0
; COMPUTE_PGM_RSRC2:TGID_Z_EN: 0
; COMPUTE_PGM_RSRC2:TIDIG_COMP_CNT: 0
	.section	.text._ZN7rocprim17ROCPRIM_400000_NS6detail17trampoline_kernelINS0_14default_configENS1_27scan_by_key_config_selectorImiEEZZNS1_16scan_by_key_implILNS1_25lookback_scan_determinismE0ELb0ES3_N6thrust23THRUST_200600_302600_NS18transform_iteratorI9row_indexNS9_17counting_iteratorImNS9_11use_defaultESD_SD_EESD_SD_EENS9_6detail15normal_iteratorINS9_10device_ptrIiEEEESK_iNS9_4plusIvEENS9_8equal_toIvEEiEE10hipError_tPvRmT2_T3_T4_T5_mT6_T7_P12ihipStream_tbENKUlT_T0_E_clISt17integral_constantIbLb1EES15_EEDaS10_S11_EUlS10_E_NS1_11comp_targetILNS1_3genE3ELNS1_11target_archE908ELNS1_3gpuE7ELNS1_3repE0EEENS1_30default_config_static_selectorELNS0_4arch9wavefront6targetE0EEEvT1_,"axG",@progbits,_ZN7rocprim17ROCPRIM_400000_NS6detail17trampoline_kernelINS0_14default_configENS1_27scan_by_key_config_selectorImiEEZZNS1_16scan_by_key_implILNS1_25lookback_scan_determinismE0ELb0ES3_N6thrust23THRUST_200600_302600_NS18transform_iteratorI9row_indexNS9_17counting_iteratorImNS9_11use_defaultESD_SD_EESD_SD_EENS9_6detail15normal_iteratorINS9_10device_ptrIiEEEESK_iNS9_4plusIvEENS9_8equal_toIvEEiEE10hipError_tPvRmT2_T3_T4_T5_mT6_T7_P12ihipStream_tbENKUlT_T0_E_clISt17integral_constantIbLb1EES15_EEDaS10_S11_EUlS10_E_NS1_11comp_targetILNS1_3genE3ELNS1_11target_archE908ELNS1_3gpuE7ELNS1_3repE0EEENS1_30default_config_static_selectorELNS0_4arch9wavefront6targetE0EEEvT1_,comdat
	.protected	_ZN7rocprim17ROCPRIM_400000_NS6detail17trampoline_kernelINS0_14default_configENS1_27scan_by_key_config_selectorImiEEZZNS1_16scan_by_key_implILNS1_25lookback_scan_determinismE0ELb0ES3_N6thrust23THRUST_200600_302600_NS18transform_iteratorI9row_indexNS9_17counting_iteratorImNS9_11use_defaultESD_SD_EESD_SD_EENS9_6detail15normal_iteratorINS9_10device_ptrIiEEEESK_iNS9_4plusIvEENS9_8equal_toIvEEiEE10hipError_tPvRmT2_T3_T4_T5_mT6_T7_P12ihipStream_tbENKUlT_T0_E_clISt17integral_constantIbLb1EES15_EEDaS10_S11_EUlS10_E_NS1_11comp_targetILNS1_3genE3ELNS1_11target_archE908ELNS1_3gpuE7ELNS1_3repE0EEENS1_30default_config_static_selectorELNS0_4arch9wavefront6targetE0EEEvT1_ ; -- Begin function _ZN7rocprim17ROCPRIM_400000_NS6detail17trampoline_kernelINS0_14default_configENS1_27scan_by_key_config_selectorImiEEZZNS1_16scan_by_key_implILNS1_25lookback_scan_determinismE0ELb0ES3_N6thrust23THRUST_200600_302600_NS18transform_iteratorI9row_indexNS9_17counting_iteratorImNS9_11use_defaultESD_SD_EESD_SD_EENS9_6detail15normal_iteratorINS9_10device_ptrIiEEEESK_iNS9_4plusIvEENS9_8equal_toIvEEiEE10hipError_tPvRmT2_T3_T4_T5_mT6_T7_P12ihipStream_tbENKUlT_T0_E_clISt17integral_constantIbLb1EES15_EEDaS10_S11_EUlS10_E_NS1_11comp_targetILNS1_3genE3ELNS1_11target_archE908ELNS1_3gpuE7ELNS1_3repE0EEENS1_30default_config_static_selectorELNS0_4arch9wavefront6targetE0EEEvT1_
	.globl	_ZN7rocprim17ROCPRIM_400000_NS6detail17trampoline_kernelINS0_14default_configENS1_27scan_by_key_config_selectorImiEEZZNS1_16scan_by_key_implILNS1_25lookback_scan_determinismE0ELb0ES3_N6thrust23THRUST_200600_302600_NS18transform_iteratorI9row_indexNS9_17counting_iteratorImNS9_11use_defaultESD_SD_EESD_SD_EENS9_6detail15normal_iteratorINS9_10device_ptrIiEEEESK_iNS9_4plusIvEENS9_8equal_toIvEEiEE10hipError_tPvRmT2_T3_T4_T5_mT6_T7_P12ihipStream_tbENKUlT_T0_E_clISt17integral_constantIbLb1EES15_EEDaS10_S11_EUlS10_E_NS1_11comp_targetILNS1_3genE3ELNS1_11target_archE908ELNS1_3gpuE7ELNS1_3repE0EEENS1_30default_config_static_selectorELNS0_4arch9wavefront6targetE0EEEvT1_
	.p2align	8
	.type	_ZN7rocprim17ROCPRIM_400000_NS6detail17trampoline_kernelINS0_14default_configENS1_27scan_by_key_config_selectorImiEEZZNS1_16scan_by_key_implILNS1_25lookback_scan_determinismE0ELb0ES3_N6thrust23THRUST_200600_302600_NS18transform_iteratorI9row_indexNS9_17counting_iteratorImNS9_11use_defaultESD_SD_EESD_SD_EENS9_6detail15normal_iteratorINS9_10device_ptrIiEEEESK_iNS9_4plusIvEENS9_8equal_toIvEEiEE10hipError_tPvRmT2_T3_T4_T5_mT6_T7_P12ihipStream_tbENKUlT_T0_E_clISt17integral_constantIbLb1EES15_EEDaS10_S11_EUlS10_E_NS1_11comp_targetILNS1_3genE3ELNS1_11target_archE908ELNS1_3gpuE7ELNS1_3repE0EEENS1_30default_config_static_selectorELNS0_4arch9wavefront6targetE0EEEvT1_,@function
_ZN7rocprim17ROCPRIM_400000_NS6detail17trampoline_kernelINS0_14default_configENS1_27scan_by_key_config_selectorImiEEZZNS1_16scan_by_key_implILNS1_25lookback_scan_determinismE0ELb0ES3_N6thrust23THRUST_200600_302600_NS18transform_iteratorI9row_indexNS9_17counting_iteratorImNS9_11use_defaultESD_SD_EESD_SD_EENS9_6detail15normal_iteratorINS9_10device_ptrIiEEEESK_iNS9_4plusIvEENS9_8equal_toIvEEiEE10hipError_tPvRmT2_T3_T4_T5_mT6_T7_P12ihipStream_tbENKUlT_T0_E_clISt17integral_constantIbLb1EES15_EEDaS10_S11_EUlS10_E_NS1_11comp_targetILNS1_3genE3ELNS1_11target_archE908ELNS1_3gpuE7ELNS1_3repE0EEENS1_30default_config_static_selectorELNS0_4arch9wavefront6targetE0EEEvT1_: ; @_ZN7rocprim17ROCPRIM_400000_NS6detail17trampoline_kernelINS0_14default_configENS1_27scan_by_key_config_selectorImiEEZZNS1_16scan_by_key_implILNS1_25lookback_scan_determinismE0ELb0ES3_N6thrust23THRUST_200600_302600_NS18transform_iteratorI9row_indexNS9_17counting_iteratorImNS9_11use_defaultESD_SD_EESD_SD_EENS9_6detail15normal_iteratorINS9_10device_ptrIiEEEESK_iNS9_4plusIvEENS9_8equal_toIvEEiEE10hipError_tPvRmT2_T3_T4_T5_mT6_T7_P12ihipStream_tbENKUlT_T0_E_clISt17integral_constantIbLb1EES15_EEDaS10_S11_EUlS10_E_NS1_11comp_targetILNS1_3genE3ELNS1_11target_archE908ELNS1_3gpuE7ELNS1_3repE0EEENS1_30default_config_static_selectorELNS0_4arch9wavefront6targetE0EEEvT1_
; %bb.0:
	.section	.rodata,"a",@progbits
	.p2align	6, 0x0
	.amdhsa_kernel _ZN7rocprim17ROCPRIM_400000_NS6detail17trampoline_kernelINS0_14default_configENS1_27scan_by_key_config_selectorImiEEZZNS1_16scan_by_key_implILNS1_25lookback_scan_determinismE0ELb0ES3_N6thrust23THRUST_200600_302600_NS18transform_iteratorI9row_indexNS9_17counting_iteratorImNS9_11use_defaultESD_SD_EESD_SD_EENS9_6detail15normal_iteratorINS9_10device_ptrIiEEEESK_iNS9_4plusIvEENS9_8equal_toIvEEiEE10hipError_tPvRmT2_T3_T4_T5_mT6_T7_P12ihipStream_tbENKUlT_T0_E_clISt17integral_constantIbLb1EES15_EEDaS10_S11_EUlS10_E_NS1_11comp_targetILNS1_3genE3ELNS1_11target_archE908ELNS1_3gpuE7ELNS1_3repE0EEENS1_30default_config_static_selectorELNS0_4arch9wavefront6targetE0EEEvT1_
		.amdhsa_group_segment_fixed_size 0
		.amdhsa_private_segment_fixed_size 0
		.amdhsa_kernarg_size 120
		.amdhsa_user_sgpr_count 15
		.amdhsa_user_sgpr_dispatch_ptr 0
		.amdhsa_user_sgpr_queue_ptr 0
		.amdhsa_user_sgpr_kernarg_segment_ptr 1
		.amdhsa_user_sgpr_dispatch_id 0
		.amdhsa_user_sgpr_private_segment_size 0
		.amdhsa_wavefront_size32 1
		.amdhsa_uses_dynamic_stack 0
		.amdhsa_enable_private_segment 0
		.amdhsa_system_sgpr_workgroup_id_x 1
		.amdhsa_system_sgpr_workgroup_id_y 0
		.amdhsa_system_sgpr_workgroup_id_z 0
		.amdhsa_system_sgpr_workgroup_info 0
		.amdhsa_system_vgpr_workitem_id 0
		.amdhsa_next_free_vgpr 1
		.amdhsa_next_free_sgpr 1
		.amdhsa_reserve_vcc 0
		.amdhsa_float_round_mode_32 0
		.amdhsa_float_round_mode_16_64 0
		.amdhsa_float_denorm_mode_32 3
		.amdhsa_float_denorm_mode_16_64 3
		.amdhsa_dx10_clamp 1
		.amdhsa_ieee_mode 1
		.amdhsa_fp16_overflow 0
		.amdhsa_workgroup_processor_mode 1
		.amdhsa_memory_ordered 1
		.amdhsa_forward_progress 0
		.amdhsa_shared_vgpr_count 0
		.amdhsa_exception_fp_ieee_invalid_op 0
		.amdhsa_exception_fp_denorm_src 0
		.amdhsa_exception_fp_ieee_div_zero 0
		.amdhsa_exception_fp_ieee_overflow 0
		.amdhsa_exception_fp_ieee_underflow 0
		.amdhsa_exception_fp_ieee_inexact 0
		.amdhsa_exception_int_div_zero 0
	.end_amdhsa_kernel
	.section	.text._ZN7rocprim17ROCPRIM_400000_NS6detail17trampoline_kernelINS0_14default_configENS1_27scan_by_key_config_selectorImiEEZZNS1_16scan_by_key_implILNS1_25lookback_scan_determinismE0ELb0ES3_N6thrust23THRUST_200600_302600_NS18transform_iteratorI9row_indexNS9_17counting_iteratorImNS9_11use_defaultESD_SD_EESD_SD_EENS9_6detail15normal_iteratorINS9_10device_ptrIiEEEESK_iNS9_4plusIvEENS9_8equal_toIvEEiEE10hipError_tPvRmT2_T3_T4_T5_mT6_T7_P12ihipStream_tbENKUlT_T0_E_clISt17integral_constantIbLb1EES15_EEDaS10_S11_EUlS10_E_NS1_11comp_targetILNS1_3genE3ELNS1_11target_archE908ELNS1_3gpuE7ELNS1_3repE0EEENS1_30default_config_static_selectorELNS0_4arch9wavefront6targetE0EEEvT1_,"axG",@progbits,_ZN7rocprim17ROCPRIM_400000_NS6detail17trampoline_kernelINS0_14default_configENS1_27scan_by_key_config_selectorImiEEZZNS1_16scan_by_key_implILNS1_25lookback_scan_determinismE0ELb0ES3_N6thrust23THRUST_200600_302600_NS18transform_iteratorI9row_indexNS9_17counting_iteratorImNS9_11use_defaultESD_SD_EESD_SD_EENS9_6detail15normal_iteratorINS9_10device_ptrIiEEEESK_iNS9_4plusIvEENS9_8equal_toIvEEiEE10hipError_tPvRmT2_T3_T4_T5_mT6_T7_P12ihipStream_tbENKUlT_T0_E_clISt17integral_constantIbLb1EES15_EEDaS10_S11_EUlS10_E_NS1_11comp_targetILNS1_3genE3ELNS1_11target_archE908ELNS1_3gpuE7ELNS1_3repE0EEENS1_30default_config_static_selectorELNS0_4arch9wavefront6targetE0EEEvT1_,comdat
.Lfunc_end18:
	.size	_ZN7rocprim17ROCPRIM_400000_NS6detail17trampoline_kernelINS0_14default_configENS1_27scan_by_key_config_selectorImiEEZZNS1_16scan_by_key_implILNS1_25lookback_scan_determinismE0ELb0ES3_N6thrust23THRUST_200600_302600_NS18transform_iteratorI9row_indexNS9_17counting_iteratorImNS9_11use_defaultESD_SD_EESD_SD_EENS9_6detail15normal_iteratorINS9_10device_ptrIiEEEESK_iNS9_4plusIvEENS9_8equal_toIvEEiEE10hipError_tPvRmT2_T3_T4_T5_mT6_T7_P12ihipStream_tbENKUlT_T0_E_clISt17integral_constantIbLb1EES15_EEDaS10_S11_EUlS10_E_NS1_11comp_targetILNS1_3genE3ELNS1_11target_archE908ELNS1_3gpuE7ELNS1_3repE0EEENS1_30default_config_static_selectorELNS0_4arch9wavefront6targetE0EEEvT1_, .Lfunc_end18-_ZN7rocprim17ROCPRIM_400000_NS6detail17trampoline_kernelINS0_14default_configENS1_27scan_by_key_config_selectorImiEEZZNS1_16scan_by_key_implILNS1_25lookback_scan_determinismE0ELb0ES3_N6thrust23THRUST_200600_302600_NS18transform_iteratorI9row_indexNS9_17counting_iteratorImNS9_11use_defaultESD_SD_EESD_SD_EENS9_6detail15normal_iteratorINS9_10device_ptrIiEEEESK_iNS9_4plusIvEENS9_8equal_toIvEEiEE10hipError_tPvRmT2_T3_T4_T5_mT6_T7_P12ihipStream_tbENKUlT_T0_E_clISt17integral_constantIbLb1EES15_EEDaS10_S11_EUlS10_E_NS1_11comp_targetILNS1_3genE3ELNS1_11target_archE908ELNS1_3gpuE7ELNS1_3repE0EEENS1_30default_config_static_selectorELNS0_4arch9wavefront6targetE0EEEvT1_
                                        ; -- End function
	.section	.AMDGPU.csdata,"",@progbits
; Kernel info:
; codeLenInByte = 0
; NumSgprs: 0
; NumVgprs: 0
; ScratchSize: 0
; MemoryBound: 0
; FloatMode: 240
; IeeeMode: 1
; LDSByteSize: 0 bytes/workgroup (compile time only)
; SGPRBlocks: 0
; VGPRBlocks: 0
; NumSGPRsForWavesPerEU: 1
; NumVGPRsForWavesPerEU: 1
; Occupancy: 16
; WaveLimiterHint : 0
; COMPUTE_PGM_RSRC2:SCRATCH_EN: 0
; COMPUTE_PGM_RSRC2:USER_SGPR: 15
; COMPUTE_PGM_RSRC2:TRAP_HANDLER: 0
; COMPUTE_PGM_RSRC2:TGID_X_EN: 1
; COMPUTE_PGM_RSRC2:TGID_Y_EN: 0
; COMPUTE_PGM_RSRC2:TGID_Z_EN: 0
; COMPUTE_PGM_RSRC2:TIDIG_COMP_CNT: 0
	.section	.text._ZN7rocprim17ROCPRIM_400000_NS6detail17trampoline_kernelINS0_14default_configENS1_27scan_by_key_config_selectorImiEEZZNS1_16scan_by_key_implILNS1_25lookback_scan_determinismE0ELb0ES3_N6thrust23THRUST_200600_302600_NS18transform_iteratorI9row_indexNS9_17counting_iteratorImNS9_11use_defaultESD_SD_EESD_SD_EENS9_6detail15normal_iteratorINS9_10device_ptrIiEEEESK_iNS9_4plusIvEENS9_8equal_toIvEEiEE10hipError_tPvRmT2_T3_T4_T5_mT6_T7_P12ihipStream_tbENKUlT_T0_E_clISt17integral_constantIbLb1EES15_EEDaS10_S11_EUlS10_E_NS1_11comp_targetILNS1_3genE2ELNS1_11target_archE906ELNS1_3gpuE6ELNS1_3repE0EEENS1_30default_config_static_selectorELNS0_4arch9wavefront6targetE0EEEvT1_,"axG",@progbits,_ZN7rocprim17ROCPRIM_400000_NS6detail17trampoline_kernelINS0_14default_configENS1_27scan_by_key_config_selectorImiEEZZNS1_16scan_by_key_implILNS1_25lookback_scan_determinismE0ELb0ES3_N6thrust23THRUST_200600_302600_NS18transform_iteratorI9row_indexNS9_17counting_iteratorImNS9_11use_defaultESD_SD_EESD_SD_EENS9_6detail15normal_iteratorINS9_10device_ptrIiEEEESK_iNS9_4plusIvEENS9_8equal_toIvEEiEE10hipError_tPvRmT2_T3_T4_T5_mT6_T7_P12ihipStream_tbENKUlT_T0_E_clISt17integral_constantIbLb1EES15_EEDaS10_S11_EUlS10_E_NS1_11comp_targetILNS1_3genE2ELNS1_11target_archE906ELNS1_3gpuE6ELNS1_3repE0EEENS1_30default_config_static_selectorELNS0_4arch9wavefront6targetE0EEEvT1_,comdat
	.protected	_ZN7rocprim17ROCPRIM_400000_NS6detail17trampoline_kernelINS0_14default_configENS1_27scan_by_key_config_selectorImiEEZZNS1_16scan_by_key_implILNS1_25lookback_scan_determinismE0ELb0ES3_N6thrust23THRUST_200600_302600_NS18transform_iteratorI9row_indexNS9_17counting_iteratorImNS9_11use_defaultESD_SD_EESD_SD_EENS9_6detail15normal_iteratorINS9_10device_ptrIiEEEESK_iNS9_4plusIvEENS9_8equal_toIvEEiEE10hipError_tPvRmT2_T3_T4_T5_mT6_T7_P12ihipStream_tbENKUlT_T0_E_clISt17integral_constantIbLb1EES15_EEDaS10_S11_EUlS10_E_NS1_11comp_targetILNS1_3genE2ELNS1_11target_archE906ELNS1_3gpuE6ELNS1_3repE0EEENS1_30default_config_static_selectorELNS0_4arch9wavefront6targetE0EEEvT1_ ; -- Begin function _ZN7rocprim17ROCPRIM_400000_NS6detail17trampoline_kernelINS0_14default_configENS1_27scan_by_key_config_selectorImiEEZZNS1_16scan_by_key_implILNS1_25lookback_scan_determinismE0ELb0ES3_N6thrust23THRUST_200600_302600_NS18transform_iteratorI9row_indexNS9_17counting_iteratorImNS9_11use_defaultESD_SD_EESD_SD_EENS9_6detail15normal_iteratorINS9_10device_ptrIiEEEESK_iNS9_4plusIvEENS9_8equal_toIvEEiEE10hipError_tPvRmT2_T3_T4_T5_mT6_T7_P12ihipStream_tbENKUlT_T0_E_clISt17integral_constantIbLb1EES15_EEDaS10_S11_EUlS10_E_NS1_11comp_targetILNS1_3genE2ELNS1_11target_archE906ELNS1_3gpuE6ELNS1_3repE0EEENS1_30default_config_static_selectorELNS0_4arch9wavefront6targetE0EEEvT1_
	.globl	_ZN7rocprim17ROCPRIM_400000_NS6detail17trampoline_kernelINS0_14default_configENS1_27scan_by_key_config_selectorImiEEZZNS1_16scan_by_key_implILNS1_25lookback_scan_determinismE0ELb0ES3_N6thrust23THRUST_200600_302600_NS18transform_iteratorI9row_indexNS9_17counting_iteratorImNS9_11use_defaultESD_SD_EESD_SD_EENS9_6detail15normal_iteratorINS9_10device_ptrIiEEEESK_iNS9_4plusIvEENS9_8equal_toIvEEiEE10hipError_tPvRmT2_T3_T4_T5_mT6_T7_P12ihipStream_tbENKUlT_T0_E_clISt17integral_constantIbLb1EES15_EEDaS10_S11_EUlS10_E_NS1_11comp_targetILNS1_3genE2ELNS1_11target_archE906ELNS1_3gpuE6ELNS1_3repE0EEENS1_30default_config_static_selectorELNS0_4arch9wavefront6targetE0EEEvT1_
	.p2align	8
	.type	_ZN7rocprim17ROCPRIM_400000_NS6detail17trampoline_kernelINS0_14default_configENS1_27scan_by_key_config_selectorImiEEZZNS1_16scan_by_key_implILNS1_25lookback_scan_determinismE0ELb0ES3_N6thrust23THRUST_200600_302600_NS18transform_iteratorI9row_indexNS9_17counting_iteratorImNS9_11use_defaultESD_SD_EESD_SD_EENS9_6detail15normal_iteratorINS9_10device_ptrIiEEEESK_iNS9_4plusIvEENS9_8equal_toIvEEiEE10hipError_tPvRmT2_T3_T4_T5_mT6_T7_P12ihipStream_tbENKUlT_T0_E_clISt17integral_constantIbLb1EES15_EEDaS10_S11_EUlS10_E_NS1_11comp_targetILNS1_3genE2ELNS1_11target_archE906ELNS1_3gpuE6ELNS1_3repE0EEENS1_30default_config_static_selectorELNS0_4arch9wavefront6targetE0EEEvT1_,@function
_ZN7rocprim17ROCPRIM_400000_NS6detail17trampoline_kernelINS0_14default_configENS1_27scan_by_key_config_selectorImiEEZZNS1_16scan_by_key_implILNS1_25lookback_scan_determinismE0ELb0ES3_N6thrust23THRUST_200600_302600_NS18transform_iteratorI9row_indexNS9_17counting_iteratorImNS9_11use_defaultESD_SD_EESD_SD_EENS9_6detail15normal_iteratorINS9_10device_ptrIiEEEESK_iNS9_4plusIvEENS9_8equal_toIvEEiEE10hipError_tPvRmT2_T3_T4_T5_mT6_T7_P12ihipStream_tbENKUlT_T0_E_clISt17integral_constantIbLb1EES15_EEDaS10_S11_EUlS10_E_NS1_11comp_targetILNS1_3genE2ELNS1_11target_archE906ELNS1_3gpuE6ELNS1_3repE0EEENS1_30default_config_static_selectorELNS0_4arch9wavefront6targetE0EEEvT1_: ; @_ZN7rocprim17ROCPRIM_400000_NS6detail17trampoline_kernelINS0_14default_configENS1_27scan_by_key_config_selectorImiEEZZNS1_16scan_by_key_implILNS1_25lookback_scan_determinismE0ELb0ES3_N6thrust23THRUST_200600_302600_NS18transform_iteratorI9row_indexNS9_17counting_iteratorImNS9_11use_defaultESD_SD_EESD_SD_EENS9_6detail15normal_iteratorINS9_10device_ptrIiEEEESK_iNS9_4plusIvEENS9_8equal_toIvEEiEE10hipError_tPvRmT2_T3_T4_T5_mT6_T7_P12ihipStream_tbENKUlT_T0_E_clISt17integral_constantIbLb1EES15_EEDaS10_S11_EUlS10_E_NS1_11comp_targetILNS1_3genE2ELNS1_11target_archE906ELNS1_3gpuE6ELNS1_3repE0EEENS1_30default_config_static_selectorELNS0_4arch9wavefront6targetE0EEEvT1_
; %bb.0:
	.section	.rodata,"a",@progbits
	.p2align	6, 0x0
	.amdhsa_kernel _ZN7rocprim17ROCPRIM_400000_NS6detail17trampoline_kernelINS0_14default_configENS1_27scan_by_key_config_selectorImiEEZZNS1_16scan_by_key_implILNS1_25lookback_scan_determinismE0ELb0ES3_N6thrust23THRUST_200600_302600_NS18transform_iteratorI9row_indexNS9_17counting_iteratorImNS9_11use_defaultESD_SD_EESD_SD_EENS9_6detail15normal_iteratorINS9_10device_ptrIiEEEESK_iNS9_4plusIvEENS9_8equal_toIvEEiEE10hipError_tPvRmT2_T3_T4_T5_mT6_T7_P12ihipStream_tbENKUlT_T0_E_clISt17integral_constantIbLb1EES15_EEDaS10_S11_EUlS10_E_NS1_11comp_targetILNS1_3genE2ELNS1_11target_archE906ELNS1_3gpuE6ELNS1_3repE0EEENS1_30default_config_static_selectorELNS0_4arch9wavefront6targetE0EEEvT1_
		.amdhsa_group_segment_fixed_size 0
		.amdhsa_private_segment_fixed_size 0
		.amdhsa_kernarg_size 120
		.amdhsa_user_sgpr_count 15
		.amdhsa_user_sgpr_dispatch_ptr 0
		.amdhsa_user_sgpr_queue_ptr 0
		.amdhsa_user_sgpr_kernarg_segment_ptr 1
		.amdhsa_user_sgpr_dispatch_id 0
		.amdhsa_user_sgpr_private_segment_size 0
		.amdhsa_wavefront_size32 1
		.amdhsa_uses_dynamic_stack 0
		.amdhsa_enable_private_segment 0
		.amdhsa_system_sgpr_workgroup_id_x 1
		.amdhsa_system_sgpr_workgroup_id_y 0
		.amdhsa_system_sgpr_workgroup_id_z 0
		.amdhsa_system_sgpr_workgroup_info 0
		.amdhsa_system_vgpr_workitem_id 0
		.amdhsa_next_free_vgpr 1
		.amdhsa_next_free_sgpr 1
		.amdhsa_reserve_vcc 0
		.amdhsa_float_round_mode_32 0
		.amdhsa_float_round_mode_16_64 0
		.amdhsa_float_denorm_mode_32 3
		.amdhsa_float_denorm_mode_16_64 3
		.amdhsa_dx10_clamp 1
		.amdhsa_ieee_mode 1
		.amdhsa_fp16_overflow 0
		.amdhsa_workgroup_processor_mode 1
		.amdhsa_memory_ordered 1
		.amdhsa_forward_progress 0
		.amdhsa_shared_vgpr_count 0
		.amdhsa_exception_fp_ieee_invalid_op 0
		.amdhsa_exception_fp_denorm_src 0
		.amdhsa_exception_fp_ieee_div_zero 0
		.amdhsa_exception_fp_ieee_overflow 0
		.amdhsa_exception_fp_ieee_underflow 0
		.amdhsa_exception_fp_ieee_inexact 0
		.amdhsa_exception_int_div_zero 0
	.end_amdhsa_kernel
	.section	.text._ZN7rocprim17ROCPRIM_400000_NS6detail17trampoline_kernelINS0_14default_configENS1_27scan_by_key_config_selectorImiEEZZNS1_16scan_by_key_implILNS1_25lookback_scan_determinismE0ELb0ES3_N6thrust23THRUST_200600_302600_NS18transform_iteratorI9row_indexNS9_17counting_iteratorImNS9_11use_defaultESD_SD_EESD_SD_EENS9_6detail15normal_iteratorINS9_10device_ptrIiEEEESK_iNS9_4plusIvEENS9_8equal_toIvEEiEE10hipError_tPvRmT2_T3_T4_T5_mT6_T7_P12ihipStream_tbENKUlT_T0_E_clISt17integral_constantIbLb1EES15_EEDaS10_S11_EUlS10_E_NS1_11comp_targetILNS1_3genE2ELNS1_11target_archE906ELNS1_3gpuE6ELNS1_3repE0EEENS1_30default_config_static_selectorELNS0_4arch9wavefront6targetE0EEEvT1_,"axG",@progbits,_ZN7rocprim17ROCPRIM_400000_NS6detail17trampoline_kernelINS0_14default_configENS1_27scan_by_key_config_selectorImiEEZZNS1_16scan_by_key_implILNS1_25lookback_scan_determinismE0ELb0ES3_N6thrust23THRUST_200600_302600_NS18transform_iteratorI9row_indexNS9_17counting_iteratorImNS9_11use_defaultESD_SD_EESD_SD_EENS9_6detail15normal_iteratorINS9_10device_ptrIiEEEESK_iNS9_4plusIvEENS9_8equal_toIvEEiEE10hipError_tPvRmT2_T3_T4_T5_mT6_T7_P12ihipStream_tbENKUlT_T0_E_clISt17integral_constantIbLb1EES15_EEDaS10_S11_EUlS10_E_NS1_11comp_targetILNS1_3genE2ELNS1_11target_archE906ELNS1_3gpuE6ELNS1_3repE0EEENS1_30default_config_static_selectorELNS0_4arch9wavefront6targetE0EEEvT1_,comdat
.Lfunc_end19:
	.size	_ZN7rocprim17ROCPRIM_400000_NS6detail17trampoline_kernelINS0_14default_configENS1_27scan_by_key_config_selectorImiEEZZNS1_16scan_by_key_implILNS1_25lookback_scan_determinismE0ELb0ES3_N6thrust23THRUST_200600_302600_NS18transform_iteratorI9row_indexNS9_17counting_iteratorImNS9_11use_defaultESD_SD_EESD_SD_EENS9_6detail15normal_iteratorINS9_10device_ptrIiEEEESK_iNS9_4plusIvEENS9_8equal_toIvEEiEE10hipError_tPvRmT2_T3_T4_T5_mT6_T7_P12ihipStream_tbENKUlT_T0_E_clISt17integral_constantIbLb1EES15_EEDaS10_S11_EUlS10_E_NS1_11comp_targetILNS1_3genE2ELNS1_11target_archE906ELNS1_3gpuE6ELNS1_3repE0EEENS1_30default_config_static_selectorELNS0_4arch9wavefront6targetE0EEEvT1_, .Lfunc_end19-_ZN7rocprim17ROCPRIM_400000_NS6detail17trampoline_kernelINS0_14default_configENS1_27scan_by_key_config_selectorImiEEZZNS1_16scan_by_key_implILNS1_25lookback_scan_determinismE0ELb0ES3_N6thrust23THRUST_200600_302600_NS18transform_iteratorI9row_indexNS9_17counting_iteratorImNS9_11use_defaultESD_SD_EESD_SD_EENS9_6detail15normal_iteratorINS9_10device_ptrIiEEEESK_iNS9_4plusIvEENS9_8equal_toIvEEiEE10hipError_tPvRmT2_T3_T4_T5_mT6_T7_P12ihipStream_tbENKUlT_T0_E_clISt17integral_constantIbLb1EES15_EEDaS10_S11_EUlS10_E_NS1_11comp_targetILNS1_3genE2ELNS1_11target_archE906ELNS1_3gpuE6ELNS1_3repE0EEENS1_30default_config_static_selectorELNS0_4arch9wavefront6targetE0EEEvT1_
                                        ; -- End function
	.section	.AMDGPU.csdata,"",@progbits
; Kernel info:
; codeLenInByte = 0
; NumSgprs: 0
; NumVgprs: 0
; ScratchSize: 0
; MemoryBound: 0
; FloatMode: 240
; IeeeMode: 1
; LDSByteSize: 0 bytes/workgroup (compile time only)
; SGPRBlocks: 0
; VGPRBlocks: 0
; NumSGPRsForWavesPerEU: 1
; NumVGPRsForWavesPerEU: 1
; Occupancy: 16
; WaveLimiterHint : 0
; COMPUTE_PGM_RSRC2:SCRATCH_EN: 0
; COMPUTE_PGM_RSRC2:USER_SGPR: 15
; COMPUTE_PGM_RSRC2:TRAP_HANDLER: 0
; COMPUTE_PGM_RSRC2:TGID_X_EN: 1
; COMPUTE_PGM_RSRC2:TGID_Y_EN: 0
; COMPUTE_PGM_RSRC2:TGID_Z_EN: 0
; COMPUTE_PGM_RSRC2:TIDIG_COMP_CNT: 0
	.section	.text._ZN7rocprim17ROCPRIM_400000_NS6detail17trampoline_kernelINS0_14default_configENS1_27scan_by_key_config_selectorImiEEZZNS1_16scan_by_key_implILNS1_25lookback_scan_determinismE0ELb0ES3_N6thrust23THRUST_200600_302600_NS18transform_iteratorI9row_indexNS9_17counting_iteratorImNS9_11use_defaultESD_SD_EESD_SD_EENS9_6detail15normal_iteratorINS9_10device_ptrIiEEEESK_iNS9_4plusIvEENS9_8equal_toIvEEiEE10hipError_tPvRmT2_T3_T4_T5_mT6_T7_P12ihipStream_tbENKUlT_T0_E_clISt17integral_constantIbLb1EES15_EEDaS10_S11_EUlS10_E_NS1_11comp_targetILNS1_3genE10ELNS1_11target_archE1200ELNS1_3gpuE4ELNS1_3repE0EEENS1_30default_config_static_selectorELNS0_4arch9wavefront6targetE0EEEvT1_,"axG",@progbits,_ZN7rocprim17ROCPRIM_400000_NS6detail17trampoline_kernelINS0_14default_configENS1_27scan_by_key_config_selectorImiEEZZNS1_16scan_by_key_implILNS1_25lookback_scan_determinismE0ELb0ES3_N6thrust23THRUST_200600_302600_NS18transform_iteratorI9row_indexNS9_17counting_iteratorImNS9_11use_defaultESD_SD_EESD_SD_EENS9_6detail15normal_iteratorINS9_10device_ptrIiEEEESK_iNS9_4plusIvEENS9_8equal_toIvEEiEE10hipError_tPvRmT2_T3_T4_T5_mT6_T7_P12ihipStream_tbENKUlT_T0_E_clISt17integral_constantIbLb1EES15_EEDaS10_S11_EUlS10_E_NS1_11comp_targetILNS1_3genE10ELNS1_11target_archE1200ELNS1_3gpuE4ELNS1_3repE0EEENS1_30default_config_static_selectorELNS0_4arch9wavefront6targetE0EEEvT1_,comdat
	.protected	_ZN7rocprim17ROCPRIM_400000_NS6detail17trampoline_kernelINS0_14default_configENS1_27scan_by_key_config_selectorImiEEZZNS1_16scan_by_key_implILNS1_25lookback_scan_determinismE0ELb0ES3_N6thrust23THRUST_200600_302600_NS18transform_iteratorI9row_indexNS9_17counting_iteratorImNS9_11use_defaultESD_SD_EESD_SD_EENS9_6detail15normal_iteratorINS9_10device_ptrIiEEEESK_iNS9_4plusIvEENS9_8equal_toIvEEiEE10hipError_tPvRmT2_T3_T4_T5_mT6_T7_P12ihipStream_tbENKUlT_T0_E_clISt17integral_constantIbLb1EES15_EEDaS10_S11_EUlS10_E_NS1_11comp_targetILNS1_3genE10ELNS1_11target_archE1200ELNS1_3gpuE4ELNS1_3repE0EEENS1_30default_config_static_selectorELNS0_4arch9wavefront6targetE0EEEvT1_ ; -- Begin function _ZN7rocprim17ROCPRIM_400000_NS6detail17trampoline_kernelINS0_14default_configENS1_27scan_by_key_config_selectorImiEEZZNS1_16scan_by_key_implILNS1_25lookback_scan_determinismE0ELb0ES3_N6thrust23THRUST_200600_302600_NS18transform_iteratorI9row_indexNS9_17counting_iteratorImNS9_11use_defaultESD_SD_EESD_SD_EENS9_6detail15normal_iteratorINS9_10device_ptrIiEEEESK_iNS9_4plusIvEENS9_8equal_toIvEEiEE10hipError_tPvRmT2_T3_T4_T5_mT6_T7_P12ihipStream_tbENKUlT_T0_E_clISt17integral_constantIbLb1EES15_EEDaS10_S11_EUlS10_E_NS1_11comp_targetILNS1_3genE10ELNS1_11target_archE1200ELNS1_3gpuE4ELNS1_3repE0EEENS1_30default_config_static_selectorELNS0_4arch9wavefront6targetE0EEEvT1_
	.globl	_ZN7rocprim17ROCPRIM_400000_NS6detail17trampoline_kernelINS0_14default_configENS1_27scan_by_key_config_selectorImiEEZZNS1_16scan_by_key_implILNS1_25lookback_scan_determinismE0ELb0ES3_N6thrust23THRUST_200600_302600_NS18transform_iteratorI9row_indexNS9_17counting_iteratorImNS9_11use_defaultESD_SD_EESD_SD_EENS9_6detail15normal_iteratorINS9_10device_ptrIiEEEESK_iNS9_4plusIvEENS9_8equal_toIvEEiEE10hipError_tPvRmT2_T3_T4_T5_mT6_T7_P12ihipStream_tbENKUlT_T0_E_clISt17integral_constantIbLb1EES15_EEDaS10_S11_EUlS10_E_NS1_11comp_targetILNS1_3genE10ELNS1_11target_archE1200ELNS1_3gpuE4ELNS1_3repE0EEENS1_30default_config_static_selectorELNS0_4arch9wavefront6targetE0EEEvT1_
	.p2align	8
	.type	_ZN7rocprim17ROCPRIM_400000_NS6detail17trampoline_kernelINS0_14default_configENS1_27scan_by_key_config_selectorImiEEZZNS1_16scan_by_key_implILNS1_25lookback_scan_determinismE0ELb0ES3_N6thrust23THRUST_200600_302600_NS18transform_iteratorI9row_indexNS9_17counting_iteratorImNS9_11use_defaultESD_SD_EESD_SD_EENS9_6detail15normal_iteratorINS9_10device_ptrIiEEEESK_iNS9_4plusIvEENS9_8equal_toIvEEiEE10hipError_tPvRmT2_T3_T4_T5_mT6_T7_P12ihipStream_tbENKUlT_T0_E_clISt17integral_constantIbLb1EES15_EEDaS10_S11_EUlS10_E_NS1_11comp_targetILNS1_3genE10ELNS1_11target_archE1200ELNS1_3gpuE4ELNS1_3repE0EEENS1_30default_config_static_selectorELNS0_4arch9wavefront6targetE0EEEvT1_,@function
_ZN7rocprim17ROCPRIM_400000_NS6detail17trampoline_kernelINS0_14default_configENS1_27scan_by_key_config_selectorImiEEZZNS1_16scan_by_key_implILNS1_25lookback_scan_determinismE0ELb0ES3_N6thrust23THRUST_200600_302600_NS18transform_iteratorI9row_indexNS9_17counting_iteratorImNS9_11use_defaultESD_SD_EESD_SD_EENS9_6detail15normal_iteratorINS9_10device_ptrIiEEEESK_iNS9_4plusIvEENS9_8equal_toIvEEiEE10hipError_tPvRmT2_T3_T4_T5_mT6_T7_P12ihipStream_tbENKUlT_T0_E_clISt17integral_constantIbLb1EES15_EEDaS10_S11_EUlS10_E_NS1_11comp_targetILNS1_3genE10ELNS1_11target_archE1200ELNS1_3gpuE4ELNS1_3repE0EEENS1_30default_config_static_selectorELNS0_4arch9wavefront6targetE0EEEvT1_: ; @_ZN7rocprim17ROCPRIM_400000_NS6detail17trampoline_kernelINS0_14default_configENS1_27scan_by_key_config_selectorImiEEZZNS1_16scan_by_key_implILNS1_25lookback_scan_determinismE0ELb0ES3_N6thrust23THRUST_200600_302600_NS18transform_iteratorI9row_indexNS9_17counting_iteratorImNS9_11use_defaultESD_SD_EESD_SD_EENS9_6detail15normal_iteratorINS9_10device_ptrIiEEEESK_iNS9_4plusIvEENS9_8equal_toIvEEiEE10hipError_tPvRmT2_T3_T4_T5_mT6_T7_P12ihipStream_tbENKUlT_T0_E_clISt17integral_constantIbLb1EES15_EEDaS10_S11_EUlS10_E_NS1_11comp_targetILNS1_3genE10ELNS1_11target_archE1200ELNS1_3gpuE4ELNS1_3repE0EEENS1_30default_config_static_selectorELNS0_4arch9wavefront6targetE0EEEvT1_
; %bb.0:
	.section	.rodata,"a",@progbits
	.p2align	6, 0x0
	.amdhsa_kernel _ZN7rocprim17ROCPRIM_400000_NS6detail17trampoline_kernelINS0_14default_configENS1_27scan_by_key_config_selectorImiEEZZNS1_16scan_by_key_implILNS1_25lookback_scan_determinismE0ELb0ES3_N6thrust23THRUST_200600_302600_NS18transform_iteratorI9row_indexNS9_17counting_iteratorImNS9_11use_defaultESD_SD_EESD_SD_EENS9_6detail15normal_iteratorINS9_10device_ptrIiEEEESK_iNS9_4plusIvEENS9_8equal_toIvEEiEE10hipError_tPvRmT2_T3_T4_T5_mT6_T7_P12ihipStream_tbENKUlT_T0_E_clISt17integral_constantIbLb1EES15_EEDaS10_S11_EUlS10_E_NS1_11comp_targetILNS1_3genE10ELNS1_11target_archE1200ELNS1_3gpuE4ELNS1_3repE0EEENS1_30default_config_static_selectorELNS0_4arch9wavefront6targetE0EEEvT1_
		.amdhsa_group_segment_fixed_size 0
		.amdhsa_private_segment_fixed_size 0
		.amdhsa_kernarg_size 120
		.amdhsa_user_sgpr_count 15
		.amdhsa_user_sgpr_dispatch_ptr 0
		.amdhsa_user_sgpr_queue_ptr 0
		.amdhsa_user_sgpr_kernarg_segment_ptr 1
		.amdhsa_user_sgpr_dispatch_id 0
		.amdhsa_user_sgpr_private_segment_size 0
		.amdhsa_wavefront_size32 1
		.amdhsa_uses_dynamic_stack 0
		.amdhsa_enable_private_segment 0
		.amdhsa_system_sgpr_workgroup_id_x 1
		.amdhsa_system_sgpr_workgroup_id_y 0
		.amdhsa_system_sgpr_workgroup_id_z 0
		.amdhsa_system_sgpr_workgroup_info 0
		.amdhsa_system_vgpr_workitem_id 0
		.amdhsa_next_free_vgpr 1
		.amdhsa_next_free_sgpr 1
		.amdhsa_reserve_vcc 0
		.amdhsa_float_round_mode_32 0
		.amdhsa_float_round_mode_16_64 0
		.amdhsa_float_denorm_mode_32 3
		.amdhsa_float_denorm_mode_16_64 3
		.amdhsa_dx10_clamp 1
		.amdhsa_ieee_mode 1
		.amdhsa_fp16_overflow 0
		.amdhsa_workgroup_processor_mode 1
		.amdhsa_memory_ordered 1
		.amdhsa_forward_progress 0
		.amdhsa_shared_vgpr_count 0
		.amdhsa_exception_fp_ieee_invalid_op 0
		.amdhsa_exception_fp_denorm_src 0
		.amdhsa_exception_fp_ieee_div_zero 0
		.amdhsa_exception_fp_ieee_overflow 0
		.amdhsa_exception_fp_ieee_underflow 0
		.amdhsa_exception_fp_ieee_inexact 0
		.amdhsa_exception_int_div_zero 0
	.end_amdhsa_kernel
	.section	.text._ZN7rocprim17ROCPRIM_400000_NS6detail17trampoline_kernelINS0_14default_configENS1_27scan_by_key_config_selectorImiEEZZNS1_16scan_by_key_implILNS1_25lookback_scan_determinismE0ELb0ES3_N6thrust23THRUST_200600_302600_NS18transform_iteratorI9row_indexNS9_17counting_iteratorImNS9_11use_defaultESD_SD_EESD_SD_EENS9_6detail15normal_iteratorINS9_10device_ptrIiEEEESK_iNS9_4plusIvEENS9_8equal_toIvEEiEE10hipError_tPvRmT2_T3_T4_T5_mT6_T7_P12ihipStream_tbENKUlT_T0_E_clISt17integral_constantIbLb1EES15_EEDaS10_S11_EUlS10_E_NS1_11comp_targetILNS1_3genE10ELNS1_11target_archE1200ELNS1_3gpuE4ELNS1_3repE0EEENS1_30default_config_static_selectorELNS0_4arch9wavefront6targetE0EEEvT1_,"axG",@progbits,_ZN7rocprim17ROCPRIM_400000_NS6detail17trampoline_kernelINS0_14default_configENS1_27scan_by_key_config_selectorImiEEZZNS1_16scan_by_key_implILNS1_25lookback_scan_determinismE0ELb0ES3_N6thrust23THRUST_200600_302600_NS18transform_iteratorI9row_indexNS9_17counting_iteratorImNS9_11use_defaultESD_SD_EESD_SD_EENS9_6detail15normal_iteratorINS9_10device_ptrIiEEEESK_iNS9_4plusIvEENS9_8equal_toIvEEiEE10hipError_tPvRmT2_T3_T4_T5_mT6_T7_P12ihipStream_tbENKUlT_T0_E_clISt17integral_constantIbLb1EES15_EEDaS10_S11_EUlS10_E_NS1_11comp_targetILNS1_3genE10ELNS1_11target_archE1200ELNS1_3gpuE4ELNS1_3repE0EEENS1_30default_config_static_selectorELNS0_4arch9wavefront6targetE0EEEvT1_,comdat
.Lfunc_end20:
	.size	_ZN7rocprim17ROCPRIM_400000_NS6detail17trampoline_kernelINS0_14default_configENS1_27scan_by_key_config_selectorImiEEZZNS1_16scan_by_key_implILNS1_25lookback_scan_determinismE0ELb0ES3_N6thrust23THRUST_200600_302600_NS18transform_iteratorI9row_indexNS9_17counting_iteratorImNS9_11use_defaultESD_SD_EESD_SD_EENS9_6detail15normal_iteratorINS9_10device_ptrIiEEEESK_iNS9_4plusIvEENS9_8equal_toIvEEiEE10hipError_tPvRmT2_T3_T4_T5_mT6_T7_P12ihipStream_tbENKUlT_T0_E_clISt17integral_constantIbLb1EES15_EEDaS10_S11_EUlS10_E_NS1_11comp_targetILNS1_3genE10ELNS1_11target_archE1200ELNS1_3gpuE4ELNS1_3repE0EEENS1_30default_config_static_selectorELNS0_4arch9wavefront6targetE0EEEvT1_, .Lfunc_end20-_ZN7rocprim17ROCPRIM_400000_NS6detail17trampoline_kernelINS0_14default_configENS1_27scan_by_key_config_selectorImiEEZZNS1_16scan_by_key_implILNS1_25lookback_scan_determinismE0ELb0ES3_N6thrust23THRUST_200600_302600_NS18transform_iteratorI9row_indexNS9_17counting_iteratorImNS9_11use_defaultESD_SD_EESD_SD_EENS9_6detail15normal_iteratorINS9_10device_ptrIiEEEESK_iNS9_4plusIvEENS9_8equal_toIvEEiEE10hipError_tPvRmT2_T3_T4_T5_mT6_T7_P12ihipStream_tbENKUlT_T0_E_clISt17integral_constantIbLb1EES15_EEDaS10_S11_EUlS10_E_NS1_11comp_targetILNS1_3genE10ELNS1_11target_archE1200ELNS1_3gpuE4ELNS1_3repE0EEENS1_30default_config_static_selectorELNS0_4arch9wavefront6targetE0EEEvT1_
                                        ; -- End function
	.section	.AMDGPU.csdata,"",@progbits
; Kernel info:
; codeLenInByte = 0
; NumSgprs: 0
; NumVgprs: 0
; ScratchSize: 0
; MemoryBound: 0
; FloatMode: 240
; IeeeMode: 1
; LDSByteSize: 0 bytes/workgroup (compile time only)
; SGPRBlocks: 0
; VGPRBlocks: 0
; NumSGPRsForWavesPerEU: 1
; NumVGPRsForWavesPerEU: 1
; Occupancy: 16
; WaveLimiterHint : 0
; COMPUTE_PGM_RSRC2:SCRATCH_EN: 0
; COMPUTE_PGM_RSRC2:USER_SGPR: 15
; COMPUTE_PGM_RSRC2:TRAP_HANDLER: 0
; COMPUTE_PGM_RSRC2:TGID_X_EN: 1
; COMPUTE_PGM_RSRC2:TGID_Y_EN: 0
; COMPUTE_PGM_RSRC2:TGID_Z_EN: 0
; COMPUTE_PGM_RSRC2:TIDIG_COMP_CNT: 0
	.section	.text._ZN7rocprim17ROCPRIM_400000_NS6detail17trampoline_kernelINS0_14default_configENS1_27scan_by_key_config_selectorImiEEZZNS1_16scan_by_key_implILNS1_25lookback_scan_determinismE0ELb0ES3_N6thrust23THRUST_200600_302600_NS18transform_iteratorI9row_indexNS9_17counting_iteratorImNS9_11use_defaultESD_SD_EESD_SD_EENS9_6detail15normal_iteratorINS9_10device_ptrIiEEEESK_iNS9_4plusIvEENS9_8equal_toIvEEiEE10hipError_tPvRmT2_T3_T4_T5_mT6_T7_P12ihipStream_tbENKUlT_T0_E_clISt17integral_constantIbLb1EES15_EEDaS10_S11_EUlS10_E_NS1_11comp_targetILNS1_3genE9ELNS1_11target_archE1100ELNS1_3gpuE3ELNS1_3repE0EEENS1_30default_config_static_selectorELNS0_4arch9wavefront6targetE0EEEvT1_,"axG",@progbits,_ZN7rocprim17ROCPRIM_400000_NS6detail17trampoline_kernelINS0_14default_configENS1_27scan_by_key_config_selectorImiEEZZNS1_16scan_by_key_implILNS1_25lookback_scan_determinismE0ELb0ES3_N6thrust23THRUST_200600_302600_NS18transform_iteratorI9row_indexNS9_17counting_iteratorImNS9_11use_defaultESD_SD_EESD_SD_EENS9_6detail15normal_iteratorINS9_10device_ptrIiEEEESK_iNS9_4plusIvEENS9_8equal_toIvEEiEE10hipError_tPvRmT2_T3_T4_T5_mT6_T7_P12ihipStream_tbENKUlT_T0_E_clISt17integral_constantIbLb1EES15_EEDaS10_S11_EUlS10_E_NS1_11comp_targetILNS1_3genE9ELNS1_11target_archE1100ELNS1_3gpuE3ELNS1_3repE0EEENS1_30default_config_static_selectorELNS0_4arch9wavefront6targetE0EEEvT1_,comdat
	.protected	_ZN7rocprim17ROCPRIM_400000_NS6detail17trampoline_kernelINS0_14default_configENS1_27scan_by_key_config_selectorImiEEZZNS1_16scan_by_key_implILNS1_25lookback_scan_determinismE0ELb0ES3_N6thrust23THRUST_200600_302600_NS18transform_iteratorI9row_indexNS9_17counting_iteratorImNS9_11use_defaultESD_SD_EESD_SD_EENS9_6detail15normal_iteratorINS9_10device_ptrIiEEEESK_iNS9_4plusIvEENS9_8equal_toIvEEiEE10hipError_tPvRmT2_T3_T4_T5_mT6_T7_P12ihipStream_tbENKUlT_T0_E_clISt17integral_constantIbLb1EES15_EEDaS10_S11_EUlS10_E_NS1_11comp_targetILNS1_3genE9ELNS1_11target_archE1100ELNS1_3gpuE3ELNS1_3repE0EEENS1_30default_config_static_selectorELNS0_4arch9wavefront6targetE0EEEvT1_ ; -- Begin function _ZN7rocprim17ROCPRIM_400000_NS6detail17trampoline_kernelINS0_14default_configENS1_27scan_by_key_config_selectorImiEEZZNS1_16scan_by_key_implILNS1_25lookback_scan_determinismE0ELb0ES3_N6thrust23THRUST_200600_302600_NS18transform_iteratorI9row_indexNS9_17counting_iteratorImNS9_11use_defaultESD_SD_EESD_SD_EENS9_6detail15normal_iteratorINS9_10device_ptrIiEEEESK_iNS9_4plusIvEENS9_8equal_toIvEEiEE10hipError_tPvRmT2_T3_T4_T5_mT6_T7_P12ihipStream_tbENKUlT_T0_E_clISt17integral_constantIbLb1EES15_EEDaS10_S11_EUlS10_E_NS1_11comp_targetILNS1_3genE9ELNS1_11target_archE1100ELNS1_3gpuE3ELNS1_3repE0EEENS1_30default_config_static_selectorELNS0_4arch9wavefront6targetE0EEEvT1_
	.globl	_ZN7rocprim17ROCPRIM_400000_NS6detail17trampoline_kernelINS0_14default_configENS1_27scan_by_key_config_selectorImiEEZZNS1_16scan_by_key_implILNS1_25lookback_scan_determinismE0ELb0ES3_N6thrust23THRUST_200600_302600_NS18transform_iteratorI9row_indexNS9_17counting_iteratorImNS9_11use_defaultESD_SD_EESD_SD_EENS9_6detail15normal_iteratorINS9_10device_ptrIiEEEESK_iNS9_4plusIvEENS9_8equal_toIvEEiEE10hipError_tPvRmT2_T3_T4_T5_mT6_T7_P12ihipStream_tbENKUlT_T0_E_clISt17integral_constantIbLb1EES15_EEDaS10_S11_EUlS10_E_NS1_11comp_targetILNS1_3genE9ELNS1_11target_archE1100ELNS1_3gpuE3ELNS1_3repE0EEENS1_30default_config_static_selectorELNS0_4arch9wavefront6targetE0EEEvT1_
	.p2align	8
	.type	_ZN7rocprim17ROCPRIM_400000_NS6detail17trampoline_kernelINS0_14default_configENS1_27scan_by_key_config_selectorImiEEZZNS1_16scan_by_key_implILNS1_25lookback_scan_determinismE0ELb0ES3_N6thrust23THRUST_200600_302600_NS18transform_iteratorI9row_indexNS9_17counting_iteratorImNS9_11use_defaultESD_SD_EESD_SD_EENS9_6detail15normal_iteratorINS9_10device_ptrIiEEEESK_iNS9_4plusIvEENS9_8equal_toIvEEiEE10hipError_tPvRmT2_T3_T4_T5_mT6_T7_P12ihipStream_tbENKUlT_T0_E_clISt17integral_constantIbLb1EES15_EEDaS10_S11_EUlS10_E_NS1_11comp_targetILNS1_3genE9ELNS1_11target_archE1100ELNS1_3gpuE3ELNS1_3repE0EEENS1_30default_config_static_selectorELNS0_4arch9wavefront6targetE0EEEvT1_,@function
_ZN7rocprim17ROCPRIM_400000_NS6detail17trampoline_kernelINS0_14default_configENS1_27scan_by_key_config_selectorImiEEZZNS1_16scan_by_key_implILNS1_25lookback_scan_determinismE0ELb0ES3_N6thrust23THRUST_200600_302600_NS18transform_iteratorI9row_indexNS9_17counting_iteratorImNS9_11use_defaultESD_SD_EESD_SD_EENS9_6detail15normal_iteratorINS9_10device_ptrIiEEEESK_iNS9_4plusIvEENS9_8equal_toIvEEiEE10hipError_tPvRmT2_T3_T4_T5_mT6_T7_P12ihipStream_tbENKUlT_T0_E_clISt17integral_constantIbLb1EES15_EEDaS10_S11_EUlS10_E_NS1_11comp_targetILNS1_3genE9ELNS1_11target_archE1100ELNS1_3gpuE3ELNS1_3repE0EEENS1_30default_config_static_selectorELNS0_4arch9wavefront6targetE0EEEvT1_: ; @_ZN7rocprim17ROCPRIM_400000_NS6detail17trampoline_kernelINS0_14default_configENS1_27scan_by_key_config_selectorImiEEZZNS1_16scan_by_key_implILNS1_25lookback_scan_determinismE0ELb0ES3_N6thrust23THRUST_200600_302600_NS18transform_iteratorI9row_indexNS9_17counting_iteratorImNS9_11use_defaultESD_SD_EESD_SD_EENS9_6detail15normal_iteratorINS9_10device_ptrIiEEEESK_iNS9_4plusIvEENS9_8equal_toIvEEiEE10hipError_tPvRmT2_T3_T4_T5_mT6_T7_P12ihipStream_tbENKUlT_T0_E_clISt17integral_constantIbLb1EES15_EEDaS10_S11_EUlS10_E_NS1_11comp_targetILNS1_3genE9ELNS1_11target_archE1100ELNS1_3gpuE3ELNS1_3repE0EEENS1_30default_config_static_selectorELNS0_4arch9wavefront6targetE0EEEvT1_
; %bb.0:
	s_clause 0x5
	s_load_b256 s[36:43], s[0:1], 0x0
	s_load_b64 s[34:35], s[0:1], 0x20
	s_load_b128 s[28:31], s[0:1], 0x30
	s_load_b64 s[44:45], s[0:1], 0x40
	s_load_b64 s[4:5], s[0:1], 0x70
	s_load_b256 s[20:27], s[0:1], 0x50
	v_cmp_ne_u32_e64 s3, 0, v0
	v_cmp_eq_u32_e64 s2, 0, v0
	s_delay_alu instid0(VALU_DEP_1)
	s_and_saveexec_b32 s6, s2
	s_cbranch_execz .LBB21_4
; %bb.1:
	s_mov_b32 s8, exec_lo
	s_mov_b32 s7, exec_lo
	v_mbcnt_lo_u32_b32 v1, s8, 0
                                        ; implicit-def: $vgpr2
	s_delay_alu instid0(VALU_DEP_1)
	v_cmpx_eq_u32_e32 0, v1
	s_cbranch_execz .LBB21_3
; %bb.2:
	s_bcnt1_i32_b32 s8, s8
	s_delay_alu instid0(SALU_CYCLE_1)
	v_dual_mov_b32 v2, 0 :: v_dual_mov_b32 v3, s8
	s_waitcnt lgkmcnt(0)
	global_atomic_add_u32 v2, v2, v3, s[4:5] glc
.LBB21_3:
	s_or_b32 exec_lo, exec_lo, s7
	s_waitcnt vmcnt(0) lgkmcnt(0)
	v_readfirstlane_b32 s4, v2
	s_delay_alu instid0(VALU_DEP_1)
	v_dual_mov_b32 v2, 0 :: v_dual_add_nc_u32 v1, s4, v1
	ds_store_b32 v2, v1
.LBB21_4:
	s_or_b32 exec_lo, exec_lo, s6
	v_mov_b32_e32 v1, 0
	s_waitcnt lgkmcnt(0)
	s_load_b32 s4, s[0:1], 0x48
	s_waitcnt lgkmcnt(0)
	s_barrier
	buffer_gl0_inv
	ds_load_b32 v1, v1
	s_add_u32 s5, s40, s36
	s_addc_u32 s6, s41, s37
	s_lshl_b64 s[36:37], s[40:41], 2
	s_waitcnt lgkmcnt(0)
	s_add_u32 s7, s42, s36
	s_addc_u32 s8, s43, s37
	s_barrier
	buffer_gl0_inv
	s_barrier
	buffer_gl0_inv
	s_mul_i32 s0, s45, s4
	s_mul_hi_u32 s1, s44, s4
	s_delay_alu instid0(SALU_CYCLE_1) | instskip(SKIP_4) | instid1(VALU_DEP_1)
	s_add_i32 s9, s1, s0
	v_readfirstlane_b32 s31, v1
	s_cmp_lg_u64 s[24:25], 0
	s_mov_b32 s1, 0
	s_cselect_b32 s51, -1, 0
	s_lshl_b32 s0, s31, 12
	s_delay_alu instid0(SALU_CYCLE_1)
	s_add_u32 s40, s5, s0
	s_addc_u32 s41, s6, 0
	s_lshl_b64 s[24:25], s[0:1], 2
	s_mul_i32 s0, s44, s4
	s_add_u32 s33, s7, s24
	s_addc_u32 s50, s8, s25
	s_add_u32 s42, s0, s31
	s_addc_u32 s43, s9, 0
	s_add_u32 s20, s20, -1
	s_addc_u32 s21, s21, -1
	s_delay_alu instid0(SALU_CYCLE_1) | instskip(NEXT) | instid1(VALU_DEP_1)
	v_cmp_ge_u64_e64 s21, s[42:43], s[20:21]
	s_and_b32 vcc_lo, exec_lo, s21
	s_cbranch_vccz .LBB21_107
; %bb.5:
	s_or_b64 s[4:5], s[40:41], s[38:39]
	s_mov_b32 s4, 0
	s_delay_alu instid0(SALU_CYCLE_1)
	s_cmp_lg_u64 s[4:5], 0
	s_cbranch_scc0 .LBB21_108
; %bb.6:
	v_cvt_f32_u32_e32 v1, s38
	v_cvt_f32_u32_e32 v2, s39
	s_sub_u32 s5, 0, s38
	s_subb_u32 s6, 0, s39
	s_delay_alu instid0(VALU_DEP_1) | instskip(NEXT) | instid1(VALU_DEP_1)
	v_fmamk_f32 v1, v2, 0x4f800000, v1
	v_rcp_f32_e32 v1, v1
	s_waitcnt_depctr 0xfff
	v_mul_f32_e32 v1, 0x5f7ffffc, v1
	s_delay_alu instid0(VALU_DEP_1) | instskip(NEXT) | instid1(VALU_DEP_1)
	v_mul_f32_e32 v2, 0x2f800000, v1
	v_trunc_f32_e32 v2, v2
	s_delay_alu instid0(VALU_DEP_1) | instskip(SKIP_1) | instid1(VALU_DEP_2)
	v_fmamk_f32 v1, v2, 0xcf800000, v1
	v_cvt_u32_f32_e32 v2, v2
	v_cvt_u32_f32_e32 v1, v1
	s_delay_alu instid0(VALU_DEP_2) | instskip(NEXT) | instid1(VALU_DEP_2)
	v_readfirstlane_b32 s0, v2
	v_readfirstlane_b32 s1, v1
	s_delay_alu instid0(VALU_DEP_2) | instskip(NEXT) | instid1(VALU_DEP_1)
	s_mul_i32 s7, s5, s0
	s_mul_hi_u32 s9, s5, s1
	s_mul_i32 s8, s6, s1
	s_add_i32 s7, s9, s7
	s_mul_i32 s10, s5, s1
	s_add_i32 s7, s7, s8
	s_mul_hi_u32 s9, s1, s10
	s_mul_hi_u32 s11, s0, s10
	s_mul_i32 s8, s0, s10
	s_mul_hi_u32 s10, s1, s7
	s_mul_i32 s1, s1, s7
	s_mul_hi_u32 s12, s0, s7
	s_add_u32 s1, s9, s1
	s_addc_u32 s9, 0, s10
	s_add_u32 s1, s1, s8
	s_mul_i32 s7, s0, s7
	s_addc_u32 s1, s9, s11
	s_addc_u32 s8, s12, 0
	s_add_u32 s1, s1, s7
	s_addc_u32 s7, 0, s8
	v_add_co_u32 v1, s1, v1, s1
	s_delay_alu instid0(VALU_DEP_1) | instskip(SKIP_1) | instid1(VALU_DEP_1)
	s_cmp_lg_u32 s1, 0
	s_addc_u32 s0, s0, s7
	v_readfirstlane_b32 s1, v1
	s_mul_i32 s7, s5, s0
	s_delay_alu instid0(VALU_DEP_1)
	s_mul_hi_u32 s8, s5, s1
	s_mul_i32 s6, s6, s1
	s_add_i32 s7, s8, s7
	s_mul_i32 s5, s5, s1
	s_add_i32 s7, s7, s6
	s_mul_hi_u32 s8, s0, s5
	s_mul_i32 s9, s0, s5
	s_mul_hi_u32 s5, s1, s5
	s_mul_hi_u32 s10, s1, s7
	s_mul_i32 s1, s1, s7
	s_mul_hi_u32 s6, s0, s7
	s_add_u32 s1, s5, s1
	s_addc_u32 s5, 0, s10
	s_add_u32 s1, s1, s9
	s_mul_i32 s7, s0, s7
	s_addc_u32 s1, s5, s8
	s_addc_u32 s5, s6, 0
	s_add_u32 s1, s1, s7
	s_addc_u32 s5, 0, s5
	v_add_co_u32 v1, s1, v1, s1
	s_delay_alu instid0(VALU_DEP_1) | instskip(SKIP_1) | instid1(VALU_DEP_1)
	s_cmp_lg_u32 s1, 0
	s_addc_u32 s0, s0, s5
	v_readfirstlane_b32 s1, v1
	s_mul_i32 s6, s40, s0
	s_mul_hi_u32 s5, s40, s0
	s_mul_hi_u32 s7, s41, s0
	s_mul_i32 s0, s41, s0
	s_mul_hi_u32 s8, s40, s1
	s_mul_hi_u32 s9, s41, s1
	s_mul_i32 s1, s41, s1
	s_add_u32 s6, s8, s6
	s_addc_u32 s5, 0, s5
	s_add_u32 s1, s6, s1
	s_addc_u32 s1, s5, s9
	s_addc_u32 s5, s7, 0
	s_add_u32 s1, s1, s0
	s_addc_u32 s5, 0, s5
	s_mul_hi_u32 s0, s38, s1
	s_mul_i32 s7, s38, s5
	s_mul_i32 s8, s38, s1
	s_add_i32 s0, s0, s7
	v_sub_co_u32 v1, s7, s40, s8
	s_mul_i32 s6, s39, s1
	s_delay_alu instid0(SALU_CYCLE_1) | instskip(NEXT) | instid1(VALU_DEP_1)
	s_add_i32 s0, s0, s6
	v_sub_co_u32 v2, s8, v1, s38
	s_sub_i32 s6, s41, s0
	s_cmp_lg_u32 s7, 0
	s_subb_u32 s6, s6, s39
	s_cmp_lg_u32 s8, 0
	v_cmp_le_u32_e32 vcc_lo, s38, v2
	s_subb_u32 s6, s6, 0
	s_delay_alu instid0(SALU_CYCLE_1)
	s_cmp_ge_u32 s6, s39
	v_cndmask_b32_e64 v2, 0, -1, vcc_lo
	s_cselect_b32 s8, -1, 0
	s_cmp_eq_u32 s6, s39
	s_cselect_b32 vcc_lo, -1, 0
	s_add_u32 s6, s1, 1
	v_cndmask_b32_e32 v2, s8, v2, vcc_lo
	s_addc_u32 s8, s5, 0
	s_add_u32 s9, s1, 2
	s_addc_u32 s10, s5, 0
	v_mov_b32_e32 v3, s9
	s_cmp_lg_u32 s7, 0
	v_cmp_le_u32_e32 vcc_lo, s38, v1
	s_subb_u32 s0, s41, s0
	s_delay_alu instid0(SALU_CYCLE_1)
	s_cmp_ge_u32 s0, s39
	v_cndmask_b32_e64 v1, 0, -1, vcc_lo
	s_cselect_b32 s7, -1, 0
	s_cmp_eq_u32 s0, s39
	v_cmp_ne_u32_e32 vcc_lo, 0, v2
	s_cselect_b32 s0, -1, 0
	v_mov_b32_e32 v2, s10
	v_cndmask_b32_e64 v1, s7, v1, s0
	v_cndmask_b32_e32 v3, s6, v3, vcc_lo
	s_delay_alu instid0(VALU_DEP_3) | instskip(NEXT) | instid1(VALU_DEP_3)
	v_cndmask_b32_e32 v2, s8, v2, vcc_lo
	v_cmp_ne_u32_e32 vcc_lo, 0, v1
	s_delay_alu instid0(VALU_DEP_2) | instskip(NEXT) | instid1(VALU_DEP_4)
	v_cndmask_b32_e32 v34, s5, v2, vcc_lo
	v_cndmask_b32_e32 v33, s1, v3, vcc_lo
	s_and_not1_b32 vcc_lo, exec_lo, s4
	s_cbranch_vccnz .LBB21_8
.LBB21_7:
	v_cvt_f32_u32_e32 v1, s38
	s_sub_i32 s1, 0, s38
	s_delay_alu instid0(VALU_DEP_1) | instskip(SKIP_2) | instid1(VALU_DEP_1)
	v_rcp_iflag_f32_e32 v1, v1
	s_waitcnt_depctr 0xfff
	v_mul_f32_e32 v1, 0x4f7ffffe, v1
	v_cvt_u32_f32_e32 v1, v1
	s_delay_alu instid0(VALU_DEP_1) | instskip(NEXT) | instid1(VALU_DEP_1)
	v_readfirstlane_b32 s0, v1
	s_mul_i32 s1, s1, s0
	s_delay_alu instid0(SALU_CYCLE_1) | instskip(NEXT) | instid1(SALU_CYCLE_1)
	s_mul_hi_u32 s1, s0, s1
	s_add_i32 s0, s0, s1
	s_delay_alu instid0(SALU_CYCLE_1) | instskip(NEXT) | instid1(SALU_CYCLE_1)
	s_mul_hi_u32 s0, s40, s0
	s_mul_i32 s1, s0, s38
	s_add_i32 s4, s0, 1
	s_sub_i32 s1, s40, s1
	s_delay_alu instid0(SALU_CYCLE_1)
	s_sub_i32 s5, s1, s38
	s_cmp_ge_u32 s1, s38
	s_cselect_b32 s0, s4, s0
	s_cselect_b32 s1, s5, s1
	s_add_i32 s4, s0, 1
	s_cmp_ge_u32 s1, s38
	s_mov_b32 s1, 0
	s_cselect_b32 s0, s4, s0
	s_delay_alu instid0(SALU_CYCLE_1)
	v_dual_mov_b32 v34, s1 :: v_dual_mov_b32 v33, s0
.LBB21_8:
	s_lshl_b32 s0, s20, 12
	s_delay_alu instid0(VALU_DEP_1) | instskip(SKIP_1) | instid1(SALU_CYCLE_1)
	v_dual_mov_b32 v1, v33 :: v_dual_mov_b32 v2, v34
	s_sub_i32 s52, s30, s0
	v_cmp_gt_u32_e64 s0, s52, v0
	s_delay_alu instid0(VALU_DEP_1)
	s_and_saveexec_b32 s4, s0
	s_cbranch_execz .LBB21_14
; %bb.9:
	v_add_co_u32 v3, s1, s40, v0
	s_delay_alu instid0(VALU_DEP_1) | instskip(SKIP_1) | instid1(VALU_DEP_2)
	v_add_co_ci_u32_e64 v4, null, s41, 0, s1
	v_mov_b32_e32 v1, 0
	v_or_b32_e32 v2, s39, v4
	s_delay_alu instid0(VALU_DEP_1) | instskip(SKIP_1) | instid1(SALU_CYCLE_1)
	v_cmp_ne_u64_e32 vcc_lo, 0, v[1:2]
                                        ; implicit-def: $vgpr1_vgpr2
	s_and_saveexec_b32 s1, vcc_lo
	s_xor_b32 s5, exec_lo, s1
	s_cbranch_execz .LBB21_11
; %bb.10:
	v_cvt_f32_u32_e32 v1, s38
	v_cvt_f32_u32_e32 v2, s39
	s_sub_u32 s1, 0, s38
	s_subb_u32 s6, 0, s39
	s_delay_alu instid0(VALU_DEP_1) | instskip(NEXT) | instid1(VALU_DEP_1)
	v_fmamk_f32 v1, v2, 0x4f800000, v1
	v_rcp_f32_e32 v1, v1
	s_waitcnt_depctr 0xfff
	v_mul_f32_e32 v1, 0x5f7ffffc, v1
	s_delay_alu instid0(VALU_DEP_1) | instskip(NEXT) | instid1(VALU_DEP_1)
	v_mul_f32_e32 v2, 0x2f800000, v1
	v_trunc_f32_e32 v2, v2
	s_delay_alu instid0(VALU_DEP_1) | instskip(SKIP_1) | instid1(VALU_DEP_2)
	v_fmamk_f32 v1, v2, 0xcf800000, v1
	v_cvt_u32_f32_e32 v2, v2
	v_cvt_u32_f32_e32 v1, v1
	s_delay_alu instid0(VALU_DEP_2) | instskip(NEXT) | instid1(VALU_DEP_2)
	v_mul_lo_u32 v5, s1, v2
	v_mul_hi_u32 v6, s1, v1
	v_mul_lo_u32 v7, s6, v1
	s_delay_alu instid0(VALU_DEP_2) | instskip(SKIP_1) | instid1(VALU_DEP_2)
	v_add_nc_u32_e32 v5, v6, v5
	v_mul_lo_u32 v6, s1, v1
	v_add_nc_u32_e32 v5, v5, v7
	s_delay_alu instid0(VALU_DEP_2) | instskip(NEXT) | instid1(VALU_DEP_2)
	v_mul_hi_u32 v7, v1, v6
	v_mul_lo_u32 v8, v1, v5
	v_mul_hi_u32 v9, v1, v5
	v_mul_hi_u32 v10, v2, v6
	v_mul_lo_u32 v6, v2, v6
	v_mul_hi_u32 v11, v2, v5
	v_mul_lo_u32 v5, v2, v5
	v_add_co_u32 v7, vcc_lo, v7, v8
	v_add_co_ci_u32_e32 v8, vcc_lo, 0, v9, vcc_lo
	s_delay_alu instid0(VALU_DEP_2) | instskip(NEXT) | instid1(VALU_DEP_2)
	v_add_co_u32 v6, vcc_lo, v7, v6
	v_add_co_ci_u32_e32 v6, vcc_lo, v8, v10, vcc_lo
	v_add_co_ci_u32_e32 v7, vcc_lo, 0, v11, vcc_lo
	s_delay_alu instid0(VALU_DEP_2) | instskip(NEXT) | instid1(VALU_DEP_2)
	v_add_co_u32 v5, vcc_lo, v6, v5
	v_add_co_ci_u32_e32 v6, vcc_lo, 0, v7, vcc_lo
	s_delay_alu instid0(VALU_DEP_2) | instskip(NEXT) | instid1(VALU_DEP_2)
	v_add_co_u32 v1, vcc_lo, v1, v5
	v_add_co_ci_u32_e32 v2, vcc_lo, v2, v6, vcc_lo
	s_delay_alu instid0(VALU_DEP_2) | instskip(SKIP_1) | instid1(VALU_DEP_3)
	v_mul_hi_u32 v5, s1, v1
	v_mul_lo_u32 v7, s6, v1
	v_mul_lo_u32 v6, s1, v2
	s_delay_alu instid0(VALU_DEP_1) | instskip(SKIP_1) | instid1(VALU_DEP_2)
	v_add_nc_u32_e32 v5, v5, v6
	v_mul_lo_u32 v6, s1, v1
	v_add_nc_u32_e32 v5, v5, v7
	s_delay_alu instid0(VALU_DEP_2) | instskip(NEXT) | instid1(VALU_DEP_2)
	v_mul_hi_u32 v7, v1, v6
	v_mul_lo_u32 v8, v1, v5
	v_mul_hi_u32 v9, v1, v5
	v_mul_hi_u32 v10, v2, v6
	v_mul_lo_u32 v6, v2, v6
	v_mul_hi_u32 v11, v2, v5
	v_mul_lo_u32 v5, v2, v5
	v_add_co_u32 v7, vcc_lo, v7, v8
	v_add_co_ci_u32_e32 v8, vcc_lo, 0, v9, vcc_lo
	s_delay_alu instid0(VALU_DEP_2) | instskip(NEXT) | instid1(VALU_DEP_2)
	v_add_co_u32 v6, vcc_lo, v7, v6
	v_add_co_ci_u32_e32 v6, vcc_lo, v8, v10, vcc_lo
	v_add_co_ci_u32_e32 v7, vcc_lo, 0, v11, vcc_lo
	s_delay_alu instid0(VALU_DEP_2) | instskip(NEXT) | instid1(VALU_DEP_2)
	v_add_co_u32 v5, vcc_lo, v6, v5
	v_add_co_ci_u32_e32 v6, vcc_lo, 0, v7, vcc_lo
	s_delay_alu instid0(VALU_DEP_2) | instskip(NEXT) | instid1(VALU_DEP_2)
	v_add_co_u32 v7, vcc_lo, v1, v5
	v_add_co_ci_u32_e32 v9, vcc_lo, v2, v6, vcc_lo
	s_delay_alu instid0(VALU_DEP_2) | instskip(SKIP_1) | instid1(VALU_DEP_3)
	v_mul_hi_u32 v10, v3, v7
	v_mad_u64_u32 v[5:6], null, v4, v7, 0
	v_mad_u64_u32 v[1:2], null, v3, v9, 0
	;; [unrolled: 1-line block ×3, first 2 shown]
	s_delay_alu instid0(VALU_DEP_2) | instskip(NEXT) | instid1(VALU_DEP_3)
	v_add_co_u32 v1, vcc_lo, v10, v1
	v_add_co_ci_u32_e32 v2, vcc_lo, 0, v2, vcc_lo
	s_delay_alu instid0(VALU_DEP_2) | instskip(NEXT) | instid1(VALU_DEP_2)
	v_add_co_u32 v1, vcc_lo, v1, v5
	v_add_co_ci_u32_e32 v1, vcc_lo, v2, v6, vcc_lo
	v_add_co_ci_u32_e32 v2, vcc_lo, 0, v8, vcc_lo
	s_delay_alu instid0(VALU_DEP_2) | instskip(NEXT) | instid1(VALU_DEP_2)
	v_add_co_u32 v5, vcc_lo, v1, v7
	v_add_co_ci_u32_e32 v6, vcc_lo, 0, v2, vcc_lo
	s_delay_alu instid0(VALU_DEP_2) | instskip(SKIP_1) | instid1(VALU_DEP_3)
	v_mul_lo_u32 v7, s39, v5
	v_mad_u64_u32 v[1:2], null, s38, v5, 0
	v_mul_lo_u32 v8, s38, v6
	s_delay_alu instid0(VALU_DEP_2) | instskip(NEXT) | instid1(VALU_DEP_2)
	v_sub_co_u32 v1, vcc_lo, v3, v1
	v_add3_u32 v2, v2, v8, v7
	s_delay_alu instid0(VALU_DEP_1) | instskip(NEXT) | instid1(VALU_DEP_1)
	v_sub_nc_u32_e32 v7, v4, v2
	v_subrev_co_ci_u32_e64 v3, s1, s39, v7, vcc_lo
	v_add_co_u32 v7, s1, v5, 2
	s_delay_alu instid0(VALU_DEP_1) | instskip(SKIP_3) | instid1(VALU_DEP_3)
	v_add_co_ci_u32_e64 v8, s1, 0, v6, s1
	v_sub_co_u32 v9, s1, v1, s38
	v_sub_co_ci_u32_e32 v2, vcc_lo, v4, v2, vcc_lo
	v_subrev_co_ci_u32_e64 v3, s1, 0, v3, s1
	v_cmp_le_u32_e32 vcc_lo, s38, v9
	s_delay_alu instid0(VALU_DEP_3) | instskip(SKIP_1) | instid1(VALU_DEP_4)
	v_cmp_eq_u32_e64 s1, s39, v2
	v_cndmask_b32_e64 v4, 0, -1, vcc_lo
	v_cmp_le_u32_e32 vcc_lo, s39, v3
	v_cndmask_b32_e64 v9, 0, -1, vcc_lo
	v_cmp_le_u32_e32 vcc_lo, s38, v1
	;; [unrolled: 2-line block ×3, first 2 shown]
	v_cndmask_b32_e64 v10, 0, -1, vcc_lo
	v_cmp_eq_u32_e32 vcc_lo, s39, v3
	s_delay_alu instid0(VALU_DEP_2) | instskip(SKIP_3) | instid1(VALU_DEP_3)
	v_cndmask_b32_e64 v1, v10, v1, s1
	v_cndmask_b32_e32 v3, v9, v4, vcc_lo
	v_add_co_u32 v4, vcc_lo, v5, 1
	v_add_co_ci_u32_e32 v9, vcc_lo, 0, v6, vcc_lo
	v_cmp_ne_u32_e32 vcc_lo, 0, v3
	s_delay_alu instid0(VALU_DEP_2) | instskip(SKIP_1) | instid1(VALU_DEP_2)
	v_dual_cndmask_b32 v2, v9, v8 :: v_dual_cndmask_b32 v3, v4, v7
	v_cmp_ne_u32_e32 vcc_lo, 0, v1
	v_dual_cndmask_b32 v2, v6, v2 :: v_dual_cndmask_b32 v1, v5, v3
                                        ; implicit-def: $vgpr3
.LBB21_11:
	s_and_not1_saveexec_b32 s1, s5
	s_cbranch_execz .LBB21_13
; %bb.12:
	v_cvt_f32_u32_e32 v1, s38
	s_sub_i32 s5, 0, s38
	s_delay_alu instid0(VALU_DEP_1) | instskip(SKIP_2) | instid1(VALU_DEP_1)
	v_rcp_iflag_f32_e32 v1, v1
	s_waitcnt_depctr 0xfff
	v_mul_f32_e32 v1, 0x4f7ffffe, v1
	v_cvt_u32_f32_e32 v1, v1
	s_delay_alu instid0(VALU_DEP_1) | instskip(NEXT) | instid1(VALU_DEP_1)
	v_mul_lo_u32 v2, s5, v1
	v_mul_hi_u32 v2, v1, v2
	s_delay_alu instid0(VALU_DEP_1) | instskip(NEXT) | instid1(VALU_DEP_1)
	v_add_nc_u32_e32 v1, v1, v2
	v_mul_hi_u32 v1, v3, v1
	s_delay_alu instid0(VALU_DEP_1) | instskip(NEXT) | instid1(VALU_DEP_1)
	v_mul_lo_u32 v2, v1, s38
	v_sub_nc_u32_e32 v2, v3, v2
	v_add_nc_u32_e32 v3, 1, v1
	s_delay_alu instid0(VALU_DEP_2) | instskip(SKIP_1) | instid1(VALU_DEP_2)
	v_subrev_nc_u32_e32 v4, s38, v2
	v_cmp_le_u32_e32 vcc_lo, s38, v2
	v_dual_cndmask_b32 v2, v2, v4 :: v_dual_cndmask_b32 v1, v1, v3
	s_delay_alu instid0(VALU_DEP_1) | instskip(NEXT) | instid1(VALU_DEP_2)
	v_cmp_le_u32_e32 vcc_lo, s38, v2
	v_dual_mov_b32 v2, 0 :: v_dual_add_nc_u32 v3, 1, v1
	s_delay_alu instid0(VALU_DEP_1)
	v_cndmask_b32_e32 v1, v1, v3, vcc_lo
.LBB21_13:
	s_or_b32 exec_lo, exec_lo, s1
.LBB21_14:
	s_delay_alu instid0(SALU_CYCLE_1) | instskip(SKIP_2) | instid1(VALU_DEP_2)
	s_or_b32 exec_lo, exec_lo, s4
	v_or_b32_e32 v35, 0x100, v0
	v_dual_mov_b32 v3, v33 :: v_dual_mov_b32 v4, v34
	v_cmp_gt_u32_e64 s1, s52, v35
	s_delay_alu instid0(VALU_DEP_1)
	s_and_saveexec_b32 s5, s1
	s_cbranch_execz .LBB21_20
; %bb.15:
	v_add_co_u32 v5, s4, s40, v35
	s_delay_alu instid0(VALU_DEP_1) | instskip(SKIP_1) | instid1(VALU_DEP_2)
	v_add_co_ci_u32_e64 v6, null, s41, 0, s4
	v_mov_b32_e32 v3, 0
	v_or_b32_e32 v4, s39, v6
	s_delay_alu instid0(VALU_DEP_1) | instskip(SKIP_1) | instid1(SALU_CYCLE_1)
	v_cmp_ne_u64_e32 vcc_lo, 0, v[3:4]
                                        ; implicit-def: $vgpr3_vgpr4
	s_and_saveexec_b32 s4, vcc_lo
	s_xor_b32 s6, exec_lo, s4
	s_cbranch_execz .LBB21_17
; %bb.16:
	v_cvt_f32_u32_e32 v3, s38
	v_cvt_f32_u32_e32 v4, s39
	s_sub_u32 s4, 0, s38
	s_subb_u32 s7, 0, s39
	s_delay_alu instid0(VALU_DEP_1) | instskip(NEXT) | instid1(VALU_DEP_1)
	v_fmamk_f32 v3, v4, 0x4f800000, v3
	v_rcp_f32_e32 v3, v3
	s_waitcnt_depctr 0xfff
	v_mul_f32_e32 v3, 0x5f7ffffc, v3
	s_delay_alu instid0(VALU_DEP_1) | instskip(NEXT) | instid1(VALU_DEP_1)
	v_mul_f32_e32 v4, 0x2f800000, v3
	v_trunc_f32_e32 v4, v4
	s_delay_alu instid0(VALU_DEP_1) | instskip(SKIP_1) | instid1(VALU_DEP_2)
	v_fmamk_f32 v3, v4, 0xcf800000, v3
	v_cvt_u32_f32_e32 v4, v4
	v_cvt_u32_f32_e32 v3, v3
	s_delay_alu instid0(VALU_DEP_2) | instskip(NEXT) | instid1(VALU_DEP_2)
	v_mul_lo_u32 v7, s4, v4
	v_mul_hi_u32 v8, s4, v3
	v_mul_lo_u32 v9, s7, v3
	s_delay_alu instid0(VALU_DEP_2) | instskip(SKIP_1) | instid1(VALU_DEP_2)
	v_add_nc_u32_e32 v7, v8, v7
	v_mul_lo_u32 v8, s4, v3
	v_add_nc_u32_e32 v7, v7, v9
	s_delay_alu instid0(VALU_DEP_2) | instskip(NEXT) | instid1(VALU_DEP_2)
	v_mul_hi_u32 v9, v3, v8
	v_mul_lo_u32 v10, v3, v7
	v_mul_hi_u32 v11, v3, v7
	v_mul_hi_u32 v12, v4, v8
	v_mul_lo_u32 v8, v4, v8
	v_mul_hi_u32 v13, v4, v7
	v_mul_lo_u32 v7, v4, v7
	v_add_co_u32 v9, vcc_lo, v9, v10
	v_add_co_ci_u32_e32 v10, vcc_lo, 0, v11, vcc_lo
	s_delay_alu instid0(VALU_DEP_2) | instskip(NEXT) | instid1(VALU_DEP_2)
	v_add_co_u32 v8, vcc_lo, v9, v8
	v_add_co_ci_u32_e32 v8, vcc_lo, v10, v12, vcc_lo
	v_add_co_ci_u32_e32 v9, vcc_lo, 0, v13, vcc_lo
	s_delay_alu instid0(VALU_DEP_2) | instskip(NEXT) | instid1(VALU_DEP_2)
	v_add_co_u32 v7, vcc_lo, v8, v7
	v_add_co_ci_u32_e32 v8, vcc_lo, 0, v9, vcc_lo
	s_delay_alu instid0(VALU_DEP_2) | instskip(NEXT) | instid1(VALU_DEP_2)
	v_add_co_u32 v3, vcc_lo, v3, v7
	v_add_co_ci_u32_e32 v4, vcc_lo, v4, v8, vcc_lo
	s_delay_alu instid0(VALU_DEP_2) | instskip(SKIP_1) | instid1(VALU_DEP_3)
	v_mul_hi_u32 v7, s4, v3
	v_mul_lo_u32 v9, s7, v3
	v_mul_lo_u32 v8, s4, v4
	s_delay_alu instid0(VALU_DEP_1) | instskip(SKIP_1) | instid1(VALU_DEP_2)
	v_add_nc_u32_e32 v7, v7, v8
	v_mul_lo_u32 v8, s4, v3
	v_add_nc_u32_e32 v7, v7, v9
	s_delay_alu instid0(VALU_DEP_2) | instskip(NEXT) | instid1(VALU_DEP_2)
	v_mul_hi_u32 v9, v3, v8
	v_mul_lo_u32 v10, v3, v7
	v_mul_hi_u32 v11, v3, v7
	v_mul_hi_u32 v12, v4, v8
	v_mul_lo_u32 v8, v4, v8
	v_mul_hi_u32 v13, v4, v7
	v_mul_lo_u32 v7, v4, v7
	v_add_co_u32 v9, vcc_lo, v9, v10
	v_add_co_ci_u32_e32 v10, vcc_lo, 0, v11, vcc_lo
	s_delay_alu instid0(VALU_DEP_2) | instskip(NEXT) | instid1(VALU_DEP_2)
	v_add_co_u32 v8, vcc_lo, v9, v8
	v_add_co_ci_u32_e32 v8, vcc_lo, v10, v12, vcc_lo
	v_add_co_ci_u32_e32 v9, vcc_lo, 0, v13, vcc_lo
	s_delay_alu instid0(VALU_DEP_2) | instskip(NEXT) | instid1(VALU_DEP_2)
	v_add_co_u32 v7, vcc_lo, v8, v7
	v_add_co_ci_u32_e32 v8, vcc_lo, 0, v9, vcc_lo
	s_delay_alu instid0(VALU_DEP_2) | instskip(NEXT) | instid1(VALU_DEP_2)
	v_add_co_u32 v9, vcc_lo, v3, v7
	v_add_co_ci_u32_e32 v11, vcc_lo, v4, v8, vcc_lo
	s_delay_alu instid0(VALU_DEP_2) | instskip(SKIP_1) | instid1(VALU_DEP_3)
	v_mul_hi_u32 v12, v5, v9
	v_mad_u64_u32 v[7:8], null, v6, v9, 0
	v_mad_u64_u32 v[3:4], null, v5, v11, 0
	;; [unrolled: 1-line block ×3, first 2 shown]
	s_delay_alu instid0(VALU_DEP_2) | instskip(NEXT) | instid1(VALU_DEP_3)
	v_add_co_u32 v3, vcc_lo, v12, v3
	v_add_co_ci_u32_e32 v4, vcc_lo, 0, v4, vcc_lo
	s_delay_alu instid0(VALU_DEP_2) | instskip(NEXT) | instid1(VALU_DEP_2)
	v_add_co_u32 v3, vcc_lo, v3, v7
	v_add_co_ci_u32_e32 v3, vcc_lo, v4, v8, vcc_lo
	v_add_co_ci_u32_e32 v4, vcc_lo, 0, v10, vcc_lo
	s_delay_alu instid0(VALU_DEP_2) | instskip(NEXT) | instid1(VALU_DEP_2)
	v_add_co_u32 v7, vcc_lo, v3, v9
	v_add_co_ci_u32_e32 v8, vcc_lo, 0, v4, vcc_lo
	s_delay_alu instid0(VALU_DEP_2) | instskip(SKIP_1) | instid1(VALU_DEP_3)
	v_mul_lo_u32 v9, s39, v7
	v_mad_u64_u32 v[3:4], null, s38, v7, 0
	v_mul_lo_u32 v10, s38, v8
	s_delay_alu instid0(VALU_DEP_2) | instskip(NEXT) | instid1(VALU_DEP_2)
	v_sub_co_u32 v3, vcc_lo, v5, v3
	v_add3_u32 v4, v4, v10, v9
	s_delay_alu instid0(VALU_DEP_1) | instskip(NEXT) | instid1(VALU_DEP_1)
	v_sub_nc_u32_e32 v9, v6, v4
	v_subrev_co_ci_u32_e64 v5, s4, s39, v9, vcc_lo
	v_add_co_u32 v9, s4, v7, 2
	s_delay_alu instid0(VALU_DEP_1) | instskip(SKIP_3) | instid1(VALU_DEP_3)
	v_add_co_ci_u32_e64 v10, s4, 0, v8, s4
	v_sub_co_u32 v11, s4, v3, s38
	v_sub_co_ci_u32_e32 v4, vcc_lo, v6, v4, vcc_lo
	v_subrev_co_ci_u32_e64 v5, s4, 0, v5, s4
	v_cmp_le_u32_e32 vcc_lo, s38, v11
	s_delay_alu instid0(VALU_DEP_3) | instskip(SKIP_1) | instid1(VALU_DEP_4)
	v_cmp_eq_u32_e64 s4, s39, v4
	v_cndmask_b32_e64 v6, 0, -1, vcc_lo
	v_cmp_le_u32_e32 vcc_lo, s39, v5
	v_cndmask_b32_e64 v11, 0, -1, vcc_lo
	v_cmp_le_u32_e32 vcc_lo, s38, v3
	;; [unrolled: 2-line block ×3, first 2 shown]
	v_cndmask_b32_e64 v12, 0, -1, vcc_lo
	v_cmp_eq_u32_e32 vcc_lo, s39, v5
	s_delay_alu instid0(VALU_DEP_2) | instskip(SKIP_3) | instid1(VALU_DEP_3)
	v_cndmask_b32_e64 v3, v12, v3, s4
	v_cndmask_b32_e32 v5, v11, v6, vcc_lo
	v_add_co_u32 v6, vcc_lo, v7, 1
	v_add_co_ci_u32_e32 v11, vcc_lo, 0, v8, vcc_lo
	v_cmp_ne_u32_e32 vcc_lo, 0, v5
	s_delay_alu instid0(VALU_DEP_2) | instskip(SKIP_1) | instid1(VALU_DEP_2)
	v_dual_cndmask_b32 v4, v11, v10 :: v_dual_cndmask_b32 v5, v6, v9
	v_cmp_ne_u32_e32 vcc_lo, 0, v3
	v_dual_cndmask_b32 v4, v8, v4 :: v_dual_cndmask_b32 v3, v7, v5
                                        ; implicit-def: $vgpr5
.LBB21_17:
	s_and_not1_saveexec_b32 s4, s6
	s_cbranch_execz .LBB21_19
; %bb.18:
	v_cvt_f32_u32_e32 v3, s38
	s_sub_i32 s6, 0, s38
	s_delay_alu instid0(VALU_DEP_1) | instskip(SKIP_2) | instid1(VALU_DEP_1)
	v_rcp_iflag_f32_e32 v3, v3
	s_waitcnt_depctr 0xfff
	v_mul_f32_e32 v3, 0x4f7ffffe, v3
	v_cvt_u32_f32_e32 v3, v3
	s_delay_alu instid0(VALU_DEP_1) | instskip(NEXT) | instid1(VALU_DEP_1)
	v_mul_lo_u32 v4, s6, v3
	v_mul_hi_u32 v4, v3, v4
	s_delay_alu instid0(VALU_DEP_1) | instskip(NEXT) | instid1(VALU_DEP_1)
	v_add_nc_u32_e32 v3, v3, v4
	v_mul_hi_u32 v3, v5, v3
	s_delay_alu instid0(VALU_DEP_1) | instskip(NEXT) | instid1(VALU_DEP_1)
	v_mul_lo_u32 v4, v3, s38
	v_sub_nc_u32_e32 v4, v5, v4
	v_add_nc_u32_e32 v5, 1, v3
	s_delay_alu instid0(VALU_DEP_2) | instskip(SKIP_1) | instid1(VALU_DEP_2)
	v_subrev_nc_u32_e32 v6, s38, v4
	v_cmp_le_u32_e32 vcc_lo, s38, v4
	v_dual_cndmask_b32 v4, v4, v6 :: v_dual_cndmask_b32 v3, v3, v5
	s_delay_alu instid0(VALU_DEP_1) | instskip(NEXT) | instid1(VALU_DEP_2)
	v_cmp_le_u32_e32 vcc_lo, s38, v4
	v_dual_mov_b32 v4, 0 :: v_dual_add_nc_u32 v5, 1, v3
	s_delay_alu instid0(VALU_DEP_1)
	v_cndmask_b32_e32 v3, v3, v5, vcc_lo
.LBB21_19:
	s_or_b32 exec_lo, exec_lo, s4
.LBB21_20:
	s_delay_alu instid0(SALU_CYCLE_1) | instskip(SKIP_2) | instid1(VALU_DEP_2)
	s_or_b32 exec_lo, exec_lo, s5
	v_or_b32_e32 v37, 0x200, v0
	v_dual_mov_b32 v5, v33 :: v_dual_mov_b32 v6, v34
	v_cmp_gt_u32_e64 s4, s52, v37
	s_delay_alu instid0(VALU_DEP_1)
	s_and_saveexec_b32 s6, s4
	s_cbranch_execz .LBB21_26
; %bb.21:
	v_add_co_u32 v7, s5, s40, v37
	s_delay_alu instid0(VALU_DEP_1) | instskip(SKIP_1) | instid1(VALU_DEP_2)
	v_add_co_ci_u32_e64 v8, null, s41, 0, s5
	v_mov_b32_e32 v5, 0
	v_or_b32_e32 v6, s39, v8
	s_delay_alu instid0(VALU_DEP_1) | instskip(SKIP_1) | instid1(SALU_CYCLE_1)
	v_cmp_ne_u64_e32 vcc_lo, 0, v[5:6]
                                        ; implicit-def: $vgpr5_vgpr6
	s_and_saveexec_b32 s5, vcc_lo
	s_xor_b32 s7, exec_lo, s5
	s_cbranch_execz .LBB21_23
; %bb.22:
	v_cvt_f32_u32_e32 v5, s38
	v_cvt_f32_u32_e32 v6, s39
	s_sub_u32 s5, 0, s38
	s_subb_u32 s8, 0, s39
	s_delay_alu instid0(VALU_DEP_1) | instskip(NEXT) | instid1(VALU_DEP_1)
	v_fmamk_f32 v5, v6, 0x4f800000, v5
	v_rcp_f32_e32 v5, v5
	s_waitcnt_depctr 0xfff
	v_mul_f32_e32 v5, 0x5f7ffffc, v5
	s_delay_alu instid0(VALU_DEP_1) | instskip(NEXT) | instid1(VALU_DEP_1)
	v_mul_f32_e32 v6, 0x2f800000, v5
	v_trunc_f32_e32 v6, v6
	s_delay_alu instid0(VALU_DEP_1) | instskip(SKIP_1) | instid1(VALU_DEP_2)
	v_fmamk_f32 v5, v6, 0xcf800000, v5
	v_cvt_u32_f32_e32 v6, v6
	v_cvt_u32_f32_e32 v5, v5
	s_delay_alu instid0(VALU_DEP_2) | instskip(NEXT) | instid1(VALU_DEP_2)
	v_mul_lo_u32 v9, s5, v6
	v_mul_hi_u32 v10, s5, v5
	v_mul_lo_u32 v11, s8, v5
	s_delay_alu instid0(VALU_DEP_2) | instskip(SKIP_1) | instid1(VALU_DEP_2)
	v_add_nc_u32_e32 v9, v10, v9
	v_mul_lo_u32 v10, s5, v5
	v_add_nc_u32_e32 v9, v9, v11
	s_delay_alu instid0(VALU_DEP_2) | instskip(NEXT) | instid1(VALU_DEP_2)
	v_mul_hi_u32 v11, v5, v10
	v_mul_lo_u32 v12, v5, v9
	v_mul_hi_u32 v13, v5, v9
	v_mul_hi_u32 v14, v6, v10
	v_mul_lo_u32 v10, v6, v10
	v_mul_hi_u32 v15, v6, v9
	v_mul_lo_u32 v9, v6, v9
	v_add_co_u32 v11, vcc_lo, v11, v12
	v_add_co_ci_u32_e32 v12, vcc_lo, 0, v13, vcc_lo
	s_delay_alu instid0(VALU_DEP_2) | instskip(NEXT) | instid1(VALU_DEP_2)
	v_add_co_u32 v10, vcc_lo, v11, v10
	v_add_co_ci_u32_e32 v10, vcc_lo, v12, v14, vcc_lo
	v_add_co_ci_u32_e32 v11, vcc_lo, 0, v15, vcc_lo
	s_delay_alu instid0(VALU_DEP_2) | instskip(NEXT) | instid1(VALU_DEP_2)
	v_add_co_u32 v9, vcc_lo, v10, v9
	v_add_co_ci_u32_e32 v10, vcc_lo, 0, v11, vcc_lo
	s_delay_alu instid0(VALU_DEP_2) | instskip(NEXT) | instid1(VALU_DEP_2)
	v_add_co_u32 v5, vcc_lo, v5, v9
	v_add_co_ci_u32_e32 v6, vcc_lo, v6, v10, vcc_lo
	s_delay_alu instid0(VALU_DEP_2) | instskip(SKIP_1) | instid1(VALU_DEP_3)
	v_mul_hi_u32 v9, s5, v5
	v_mul_lo_u32 v11, s8, v5
	v_mul_lo_u32 v10, s5, v6
	s_delay_alu instid0(VALU_DEP_1) | instskip(SKIP_1) | instid1(VALU_DEP_2)
	v_add_nc_u32_e32 v9, v9, v10
	v_mul_lo_u32 v10, s5, v5
	v_add_nc_u32_e32 v9, v9, v11
	s_delay_alu instid0(VALU_DEP_2) | instskip(NEXT) | instid1(VALU_DEP_2)
	v_mul_hi_u32 v11, v5, v10
	v_mul_lo_u32 v12, v5, v9
	v_mul_hi_u32 v13, v5, v9
	v_mul_hi_u32 v14, v6, v10
	v_mul_lo_u32 v10, v6, v10
	v_mul_hi_u32 v15, v6, v9
	v_mul_lo_u32 v9, v6, v9
	v_add_co_u32 v11, vcc_lo, v11, v12
	v_add_co_ci_u32_e32 v12, vcc_lo, 0, v13, vcc_lo
	s_delay_alu instid0(VALU_DEP_2) | instskip(NEXT) | instid1(VALU_DEP_2)
	v_add_co_u32 v10, vcc_lo, v11, v10
	v_add_co_ci_u32_e32 v10, vcc_lo, v12, v14, vcc_lo
	v_add_co_ci_u32_e32 v11, vcc_lo, 0, v15, vcc_lo
	s_delay_alu instid0(VALU_DEP_2) | instskip(NEXT) | instid1(VALU_DEP_2)
	v_add_co_u32 v9, vcc_lo, v10, v9
	v_add_co_ci_u32_e32 v10, vcc_lo, 0, v11, vcc_lo
	s_delay_alu instid0(VALU_DEP_2) | instskip(NEXT) | instid1(VALU_DEP_2)
	v_add_co_u32 v11, vcc_lo, v5, v9
	v_add_co_ci_u32_e32 v13, vcc_lo, v6, v10, vcc_lo
	s_delay_alu instid0(VALU_DEP_2) | instskip(SKIP_1) | instid1(VALU_DEP_3)
	v_mul_hi_u32 v14, v7, v11
	v_mad_u64_u32 v[9:10], null, v8, v11, 0
	v_mad_u64_u32 v[5:6], null, v7, v13, 0
	;; [unrolled: 1-line block ×3, first 2 shown]
	s_delay_alu instid0(VALU_DEP_2) | instskip(NEXT) | instid1(VALU_DEP_3)
	v_add_co_u32 v5, vcc_lo, v14, v5
	v_add_co_ci_u32_e32 v6, vcc_lo, 0, v6, vcc_lo
	s_delay_alu instid0(VALU_DEP_2) | instskip(NEXT) | instid1(VALU_DEP_2)
	v_add_co_u32 v5, vcc_lo, v5, v9
	v_add_co_ci_u32_e32 v5, vcc_lo, v6, v10, vcc_lo
	v_add_co_ci_u32_e32 v6, vcc_lo, 0, v12, vcc_lo
	s_delay_alu instid0(VALU_DEP_2) | instskip(NEXT) | instid1(VALU_DEP_2)
	v_add_co_u32 v9, vcc_lo, v5, v11
	v_add_co_ci_u32_e32 v10, vcc_lo, 0, v6, vcc_lo
	s_delay_alu instid0(VALU_DEP_2) | instskip(SKIP_1) | instid1(VALU_DEP_3)
	v_mul_lo_u32 v11, s39, v9
	v_mad_u64_u32 v[5:6], null, s38, v9, 0
	v_mul_lo_u32 v12, s38, v10
	s_delay_alu instid0(VALU_DEP_2) | instskip(NEXT) | instid1(VALU_DEP_2)
	v_sub_co_u32 v5, vcc_lo, v7, v5
	v_add3_u32 v6, v6, v12, v11
	s_delay_alu instid0(VALU_DEP_1) | instskip(NEXT) | instid1(VALU_DEP_1)
	v_sub_nc_u32_e32 v11, v8, v6
	v_subrev_co_ci_u32_e64 v7, s5, s39, v11, vcc_lo
	v_add_co_u32 v11, s5, v9, 2
	s_delay_alu instid0(VALU_DEP_1) | instskip(SKIP_3) | instid1(VALU_DEP_3)
	v_add_co_ci_u32_e64 v12, s5, 0, v10, s5
	v_sub_co_u32 v13, s5, v5, s38
	v_sub_co_ci_u32_e32 v6, vcc_lo, v8, v6, vcc_lo
	v_subrev_co_ci_u32_e64 v7, s5, 0, v7, s5
	v_cmp_le_u32_e32 vcc_lo, s38, v13
	s_delay_alu instid0(VALU_DEP_3) | instskip(SKIP_1) | instid1(VALU_DEP_4)
	v_cmp_eq_u32_e64 s5, s39, v6
	v_cndmask_b32_e64 v8, 0, -1, vcc_lo
	v_cmp_le_u32_e32 vcc_lo, s39, v7
	v_cndmask_b32_e64 v13, 0, -1, vcc_lo
	v_cmp_le_u32_e32 vcc_lo, s38, v5
	;; [unrolled: 2-line block ×3, first 2 shown]
	v_cndmask_b32_e64 v14, 0, -1, vcc_lo
	v_cmp_eq_u32_e32 vcc_lo, s39, v7
	s_delay_alu instid0(VALU_DEP_2) | instskip(SKIP_3) | instid1(VALU_DEP_3)
	v_cndmask_b32_e64 v5, v14, v5, s5
	v_cndmask_b32_e32 v7, v13, v8, vcc_lo
	v_add_co_u32 v8, vcc_lo, v9, 1
	v_add_co_ci_u32_e32 v13, vcc_lo, 0, v10, vcc_lo
	v_cmp_ne_u32_e32 vcc_lo, 0, v7
	s_delay_alu instid0(VALU_DEP_2) | instskip(SKIP_1) | instid1(VALU_DEP_2)
	v_dual_cndmask_b32 v6, v13, v12 :: v_dual_cndmask_b32 v7, v8, v11
	v_cmp_ne_u32_e32 vcc_lo, 0, v5
	v_dual_cndmask_b32 v6, v10, v6 :: v_dual_cndmask_b32 v5, v9, v7
                                        ; implicit-def: $vgpr7
.LBB21_23:
	s_and_not1_saveexec_b32 s5, s7
	s_cbranch_execz .LBB21_25
; %bb.24:
	v_cvt_f32_u32_e32 v5, s38
	s_sub_i32 s7, 0, s38
	s_delay_alu instid0(VALU_DEP_1) | instskip(SKIP_2) | instid1(VALU_DEP_1)
	v_rcp_iflag_f32_e32 v5, v5
	s_waitcnt_depctr 0xfff
	v_mul_f32_e32 v5, 0x4f7ffffe, v5
	v_cvt_u32_f32_e32 v5, v5
	s_delay_alu instid0(VALU_DEP_1) | instskip(NEXT) | instid1(VALU_DEP_1)
	v_mul_lo_u32 v6, s7, v5
	v_mul_hi_u32 v6, v5, v6
	s_delay_alu instid0(VALU_DEP_1) | instskip(NEXT) | instid1(VALU_DEP_1)
	v_add_nc_u32_e32 v5, v5, v6
	v_mul_hi_u32 v5, v7, v5
	s_delay_alu instid0(VALU_DEP_1) | instskip(NEXT) | instid1(VALU_DEP_1)
	v_mul_lo_u32 v6, v5, s38
	v_sub_nc_u32_e32 v6, v7, v6
	v_add_nc_u32_e32 v7, 1, v5
	s_delay_alu instid0(VALU_DEP_2) | instskip(SKIP_1) | instid1(VALU_DEP_2)
	v_subrev_nc_u32_e32 v8, s38, v6
	v_cmp_le_u32_e32 vcc_lo, s38, v6
	v_dual_cndmask_b32 v6, v6, v8 :: v_dual_cndmask_b32 v5, v5, v7
	s_delay_alu instid0(VALU_DEP_1) | instskip(NEXT) | instid1(VALU_DEP_2)
	v_cmp_le_u32_e32 vcc_lo, s38, v6
	v_dual_mov_b32 v6, 0 :: v_dual_add_nc_u32 v7, 1, v5
	s_delay_alu instid0(VALU_DEP_1)
	v_cndmask_b32_e32 v5, v5, v7, vcc_lo
.LBB21_25:
	s_or_b32 exec_lo, exec_lo, s5
.LBB21_26:
	s_delay_alu instid0(SALU_CYCLE_1) | instskip(SKIP_2) | instid1(VALU_DEP_2)
	s_or_b32 exec_lo, exec_lo, s6
	v_or_b32_e32 v39, 0x300, v0
	v_dual_mov_b32 v7, v33 :: v_dual_mov_b32 v8, v34
	v_cmp_gt_u32_e64 s5, s52, v39
	s_delay_alu instid0(VALU_DEP_1)
	s_and_saveexec_b32 s7, s5
	s_cbranch_execz .LBB21_32
; %bb.27:
	v_add_co_u32 v9, s6, s40, v39
	s_delay_alu instid0(VALU_DEP_1) | instskip(SKIP_1) | instid1(VALU_DEP_2)
	v_add_co_ci_u32_e64 v10, null, s41, 0, s6
	v_mov_b32_e32 v7, 0
	v_or_b32_e32 v8, s39, v10
	s_delay_alu instid0(VALU_DEP_1) | instskip(SKIP_1) | instid1(SALU_CYCLE_1)
	v_cmp_ne_u64_e32 vcc_lo, 0, v[7:8]
                                        ; implicit-def: $vgpr7_vgpr8
	s_and_saveexec_b32 s6, vcc_lo
	s_xor_b32 s8, exec_lo, s6
	s_cbranch_execz .LBB21_29
; %bb.28:
	v_cvt_f32_u32_e32 v7, s38
	v_cvt_f32_u32_e32 v8, s39
	s_sub_u32 s6, 0, s38
	s_subb_u32 s9, 0, s39
	s_delay_alu instid0(VALU_DEP_1) | instskip(NEXT) | instid1(VALU_DEP_1)
	v_fmamk_f32 v7, v8, 0x4f800000, v7
	v_rcp_f32_e32 v7, v7
	s_waitcnt_depctr 0xfff
	v_mul_f32_e32 v7, 0x5f7ffffc, v7
	s_delay_alu instid0(VALU_DEP_1) | instskip(NEXT) | instid1(VALU_DEP_1)
	v_mul_f32_e32 v8, 0x2f800000, v7
	v_trunc_f32_e32 v8, v8
	s_delay_alu instid0(VALU_DEP_1) | instskip(SKIP_1) | instid1(VALU_DEP_2)
	v_fmamk_f32 v7, v8, 0xcf800000, v7
	v_cvt_u32_f32_e32 v8, v8
	v_cvt_u32_f32_e32 v7, v7
	s_delay_alu instid0(VALU_DEP_2) | instskip(NEXT) | instid1(VALU_DEP_2)
	v_mul_lo_u32 v11, s6, v8
	v_mul_hi_u32 v12, s6, v7
	v_mul_lo_u32 v13, s9, v7
	s_delay_alu instid0(VALU_DEP_2) | instskip(SKIP_1) | instid1(VALU_DEP_2)
	v_add_nc_u32_e32 v11, v12, v11
	v_mul_lo_u32 v12, s6, v7
	v_add_nc_u32_e32 v11, v11, v13
	s_delay_alu instid0(VALU_DEP_2) | instskip(NEXT) | instid1(VALU_DEP_2)
	v_mul_hi_u32 v13, v7, v12
	v_mul_lo_u32 v14, v7, v11
	v_mul_hi_u32 v15, v7, v11
	v_mul_hi_u32 v16, v8, v12
	v_mul_lo_u32 v12, v8, v12
	v_mul_hi_u32 v17, v8, v11
	v_mul_lo_u32 v11, v8, v11
	v_add_co_u32 v13, vcc_lo, v13, v14
	v_add_co_ci_u32_e32 v14, vcc_lo, 0, v15, vcc_lo
	s_delay_alu instid0(VALU_DEP_2) | instskip(NEXT) | instid1(VALU_DEP_2)
	v_add_co_u32 v12, vcc_lo, v13, v12
	v_add_co_ci_u32_e32 v12, vcc_lo, v14, v16, vcc_lo
	v_add_co_ci_u32_e32 v13, vcc_lo, 0, v17, vcc_lo
	s_delay_alu instid0(VALU_DEP_2) | instskip(NEXT) | instid1(VALU_DEP_2)
	v_add_co_u32 v11, vcc_lo, v12, v11
	v_add_co_ci_u32_e32 v12, vcc_lo, 0, v13, vcc_lo
	s_delay_alu instid0(VALU_DEP_2) | instskip(NEXT) | instid1(VALU_DEP_2)
	v_add_co_u32 v7, vcc_lo, v7, v11
	v_add_co_ci_u32_e32 v8, vcc_lo, v8, v12, vcc_lo
	s_delay_alu instid0(VALU_DEP_2) | instskip(SKIP_1) | instid1(VALU_DEP_3)
	v_mul_hi_u32 v11, s6, v7
	v_mul_lo_u32 v13, s9, v7
	v_mul_lo_u32 v12, s6, v8
	s_delay_alu instid0(VALU_DEP_1) | instskip(SKIP_1) | instid1(VALU_DEP_2)
	v_add_nc_u32_e32 v11, v11, v12
	v_mul_lo_u32 v12, s6, v7
	v_add_nc_u32_e32 v11, v11, v13
	s_delay_alu instid0(VALU_DEP_2) | instskip(NEXT) | instid1(VALU_DEP_2)
	v_mul_hi_u32 v13, v7, v12
	v_mul_lo_u32 v14, v7, v11
	v_mul_hi_u32 v15, v7, v11
	v_mul_hi_u32 v16, v8, v12
	v_mul_lo_u32 v12, v8, v12
	v_mul_hi_u32 v17, v8, v11
	v_mul_lo_u32 v11, v8, v11
	v_add_co_u32 v13, vcc_lo, v13, v14
	v_add_co_ci_u32_e32 v14, vcc_lo, 0, v15, vcc_lo
	s_delay_alu instid0(VALU_DEP_2) | instskip(NEXT) | instid1(VALU_DEP_2)
	v_add_co_u32 v12, vcc_lo, v13, v12
	v_add_co_ci_u32_e32 v12, vcc_lo, v14, v16, vcc_lo
	v_add_co_ci_u32_e32 v13, vcc_lo, 0, v17, vcc_lo
	s_delay_alu instid0(VALU_DEP_2) | instskip(NEXT) | instid1(VALU_DEP_2)
	v_add_co_u32 v11, vcc_lo, v12, v11
	v_add_co_ci_u32_e32 v12, vcc_lo, 0, v13, vcc_lo
	s_delay_alu instid0(VALU_DEP_2) | instskip(NEXT) | instid1(VALU_DEP_2)
	v_add_co_u32 v13, vcc_lo, v7, v11
	v_add_co_ci_u32_e32 v15, vcc_lo, v8, v12, vcc_lo
	s_delay_alu instid0(VALU_DEP_2) | instskip(SKIP_1) | instid1(VALU_DEP_3)
	v_mul_hi_u32 v16, v9, v13
	v_mad_u64_u32 v[11:12], null, v10, v13, 0
	v_mad_u64_u32 v[7:8], null, v9, v15, 0
	;; [unrolled: 1-line block ×3, first 2 shown]
	s_delay_alu instid0(VALU_DEP_2) | instskip(NEXT) | instid1(VALU_DEP_3)
	v_add_co_u32 v7, vcc_lo, v16, v7
	v_add_co_ci_u32_e32 v8, vcc_lo, 0, v8, vcc_lo
	s_delay_alu instid0(VALU_DEP_2) | instskip(NEXT) | instid1(VALU_DEP_2)
	v_add_co_u32 v7, vcc_lo, v7, v11
	v_add_co_ci_u32_e32 v7, vcc_lo, v8, v12, vcc_lo
	v_add_co_ci_u32_e32 v8, vcc_lo, 0, v14, vcc_lo
	s_delay_alu instid0(VALU_DEP_2) | instskip(NEXT) | instid1(VALU_DEP_2)
	v_add_co_u32 v11, vcc_lo, v7, v13
	v_add_co_ci_u32_e32 v12, vcc_lo, 0, v8, vcc_lo
	s_delay_alu instid0(VALU_DEP_2) | instskip(SKIP_1) | instid1(VALU_DEP_3)
	v_mul_lo_u32 v13, s39, v11
	v_mad_u64_u32 v[7:8], null, s38, v11, 0
	v_mul_lo_u32 v14, s38, v12
	s_delay_alu instid0(VALU_DEP_2) | instskip(NEXT) | instid1(VALU_DEP_2)
	v_sub_co_u32 v7, vcc_lo, v9, v7
	v_add3_u32 v8, v8, v14, v13
	s_delay_alu instid0(VALU_DEP_1) | instskip(NEXT) | instid1(VALU_DEP_1)
	v_sub_nc_u32_e32 v13, v10, v8
	v_subrev_co_ci_u32_e64 v9, s6, s39, v13, vcc_lo
	v_add_co_u32 v13, s6, v11, 2
	s_delay_alu instid0(VALU_DEP_1) | instskip(SKIP_3) | instid1(VALU_DEP_3)
	v_add_co_ci_u32_e64 v14, s6, 0, v12, s6
	v_sub_co_u32 v15, s6, v7, s38
	v_sub_co_ci_u32_e32 v8, vcc_lo, v10, v8, vcc_lo
	v_subrev_co_ci_u32_e64 v9, s6, 0, v9, s6
	v_cmp_le_u32_e32 vcc_lo, s38, v15
	s_delay_alu instid0(VALU_DEP_3) | instskip(SKIP_1) | instid1(VALU_DEP_4)
	v_cmp_eq_u32_e64 s6, s39, v8
	v_cndmask_b32_e64 v10, 0, -1, vcc_lo
	v_cmp_le_u32_e32 vcc_lo, s39, v9
	v_cndmask_b32_e64 v15, 0, -1, vcc_lo
	v_cmp_le_u32_e32 vcc_lo, s38, v7
	;; [unrolled: 2-line block ×3, first 2 shown]
	v_cndmask_b32_e64 v16, 0, -1, vcc_lo
	v_cmp_eq_u32_e32 vcc_lo, s39, v9
	s_delay_alu instid0(VALU_DEP_2) | instskip(SKIP_3) | instid1(VALU_DEP_3)
	v_cndmask_b32_e64 v7, v16, v7, s6
	v_cndmask_b32_e32 v9, v15, v10, vcc_lo
	v_add_co_u32 v10, vcc_lo, v11, 1
	v_add_co_ci_u32_e32 v15, vcc_lo, 0, v12, vcc_lo
	v_cmp_ne_u32_e32 vcc_lo, 0, v9
	s_delay_alu instid0(VALU_DEP_2) | instskip(SKIP_1) | instid1(VALU_DEP_2)
	v_dual_cndmask_b32 v8, v15, v14 :: v_dual_cndmask_b32 v9, v10, v13
	v_cmp_ne_u32_e32 vcc_lo, 0, v7
	v_dual_cndmask_b32 v8, v12, v8 :: v_dual_cndmask_b32 v7, v11, v9
                                        ; implicit-def: $vgpr9
.LBB21_29:
	s_and_not1_saveexec_b32 s6, s8
	s_cbranch_execz .LBB21_31
; %bb.30:
	v_cvt_f32_u32_e32 v7, s38
	s_sub_i32 s8, 0, s38
	s_delay_alu instid0(VALU_DEP_1) | instskip(SKIP_2) | instid1(VALU_DEP_1)
	v_rcp_iflag_f32_e32 v7, v7
	s_waitcnt_depctr 0xfff
	v_mul_f32_e32 v7, 0x4f7ffffe, v7
	v_cvt_u32_f32_e32 v7, v7
	s_delay_alu instid0(VALU_DEP_1) | instskip(NEXT) | instid1(VALU_DEP_1)
	v_mul_lo_u32 v8, s8, v7
	v_mul_hi_u32 v8, v7, v8
	s_delay_alu instid0(VALU_DEP_1) | instskip(NEXT) | instid1(VALU_DEP_1)
	v_add_nc_u32_e32 v7, v7, v8
	v_mul_hi_u32 v7, v9, v7
	s_delay_alu instid0(VALU_DEP_1) | instskip(NEXT) | instid1(VALU_DEP_1)
	v_mul_lo_u32 v8, v7, s38
	v_sub_nc_u32_e32 v8, v9, v8
	v_add_nc_u32_e32 v9, 1, v7
	s_delay_alu instid0(VALU_DEP_2) | instskip(SKIP_1) | instid1(VALU_DEP_2)
	v_subrev_nc_u32_e32 v10, s38, v8
	v_cmp_le_u32_e32 vcc_lo, s38, v8
	v_dual_cndmask_b32 v8, v8, v10 :: v_dual_cndmask_b32 v7, v7, v9
	s_delay_alu instid0(VALU_DEP_1) | instskip(NEXT) | instid1(VALU_DEP_2)
	v_cmp_le_u32_e32 vcc_lo, s38, v8
	v_dual_mov_b32 v8, 0 :: v_dual_add_nc_u32 v9, 1, v7
	s_delay_alu instid0(VALU_DEP_1)
	v_cndmask_b32_e32 v7, v7, v9, vcc_lo
.LBB21_31:
	s_or_b32 exec_lo, exec_lo, s6
.LBB21_32:
	s_delay_alu instid0(SALU_CYCLE_1) | instskip(SKIP_2) | instid1(VALU_DEP_2)
	s_or_b32 exec_lo, exec_lo, s7
	v_or_b32_e32 v36, 0x400, v0
	v_dual_mov_b32 v9, v33 :: v_dual_mov_b32 v10, v34
	v_cmp_gt_u32_e64 s6, s52, v36
	s_delay_alu instid0(VALU_DEP_1)
	s_and_saveexec_b32 s8, s6
	s_cbranch_execz .LBB21_38
; %bb.33:
	v_add_co_u32 v11, s7, s40, v36
	s_delay_alu instid0(VALU_DEP_1) | instskip(SKIP_1) | instid1(VALU_DEP_2)
	v_add_co_ci_u32_e64 v12, null, s41, 0, s7
	v_mov_b32_e32 v9, 0
	v_or_b32_e32 v10, s39, v12
	s_delay_alu instid0(VALU_DEP_1) | instskip(SKIP_1) | instid1(SALU_CYCLE_1)
	v_cmp_ne_u64_e32 vcc_lo, 0, v[9:10]
                                        ; implicit-def: $vgpr9_vgpr10
	s_and_saveexec_b32 s7, vcc_lo
	s_xor_b32 s9, exec_lo, s7
	s_cbranch_execz .LBB21_35
; %bb.34:
	v_cvt_f32_u32_e32 v9, s38
	v_cvt_f32_u32_e32 v10, s39
	s_sub_u32 s7, 0, s38
	s_subb_u32 s10, 0, s39
	s_delay_alu instid0(VALU_DEP_1) | instskip(NEXT) | instid1(VALU_DEP_1)
	v_fmamk_f32 v9, v10, 0x4f800000, v9
	v_rcp_f32_e32 v9, v9
	s_waitcnt_depctr 0xfff
	v_mul_f32_e32 v9, 0x5f7ffffc, v9
	s_delay_alu instid0(VALU_DEP_1) | instskip(NEXT) | instid1(VALU_DEP_1)
	v_mul_f32_e32 v10, 0x2f800000, v9
	v_trunc_f32_e32 v10, v10
	s_delay_alu instid0(VALU_DEP_1) | instskip(SKIP_1) | instid1(VALU_DEP_2)
	v_fmamk_f32 v9, v10, 0xcf800000, v9
	v_cvt_u32_f32_e32 v10, v10
	v_cvt_u32_f32_e32 v9, v9
	s_delay_alu instid0(VALU_DEP_2) | instskip(NEXT) | instid1(VALU_DEP_2)
	v_mul_lo_u32 v13, s7, v10
	v_mul_hi_u32 v14, s7, v9
	v_mul_lo_u32 v15, s10, v9
	s_delay_alu instid0(VALU_DEP_2) | instskip(SKIP_1) | instid1(VALU_DEP_2)
	v_add_nc_u32_e32 v13, v14, v13
	v_mul_lo_u32 v14, s7, v9
	v_add_nc_u32_e32 v13, v13, v15
	s_delay_alu instid0(VALU_DEP_2) | instskip(NEXT) | instid1(VALU_DEP_2)
	v_mul_hi_u32 v15, v9, v14
	v_mul_lo_u32 v16, v9, v13
	v_mul_hi_u32 v17, v9, v13
	v_mul_hi_u32 v18, v10, v14
	v_mul_lo_u32 v14, v10, v14
	v_mul_hi_u32 v19, v10, v13
	v_mul_lo_u32 v13, v10, v13
	v_add_co_u32 v15, vcc_lo, v15, v16
	v_add_co_ci_u32_e32 v16, vcc_lo, 0, v17, vcc_lo
	s_delay_alu instid0(VALU_DEP_2) | instskip(NEXT) | instid1(VALU_DEP_2)
	v_add_co_u32 v14, vcc_lo, v15, v14
	v_add_co_ci_u32_e32 v14, vcc_lo, v16, v18, vcc_lo
	v_add_co_ci_u32_e32 v15, vcc_lo, 0, v19, vcc_lo
	s_delay_alu instid0(VALU_DEP_2) | instskip(NEXT) | instid1(VALU_DEP_2)
	v_add_co_u32 v13, vcc_lo, v14, v13
	v_add_co_ci_u32_e32 v14, vcc_lo, 0, v15, vcc_lo
	s_delay_alu instid0(VALU_DEP_2) | instskip(NEXT) | instid1(VALU_DEP_2)
	v_add_co_u32 v9, vcc_lo, v9, v13
	v_add_co_ci_u32_e32 v10, vcc_lo, v10, v14, vcc_lo
	s_delay_alu instid0(VALU_DEP_2) | instskip(SKIP_1) | instid1(VALU_DEP_3)
	v_mul_hi_u32 v13, s7, v9
	v_mul_lo_u32 v15, s10, v9
	v_mul_lo_u32 v14, s7, v10
	s_delay_alu instid0(VALU_DEP_1) | instskip(SKIP_1) | instid1(VALU_DEP_2)
	v_add_nc_u32_e32 v13, v13, v14
	v_mul_lo_u32 v14, s7, v9
	v_add_nc_u32_e32 v13, v13, v15
	s_delay_alu instid0(VALU_DEP_2) | instskip(NEXT) | instid1(VALU_DEP_2)
	v_mul_hi_u32 v15, v9, v14
	v_mul_lo_u32 v16, v9, v13
	v_mul_hi_u32 v17, v9, v13
	v_mul_hi_u32 v18, v10, v14
	v_mul_lo_u32 v14, v10, v14
	v_mul_hi_u32 v19, v10, v13
	v_mul_lo_u32 v13, v10, v13
	v_add_co_u32 v15, vcc_lo, v15, v16
	v_add_co_ci_u32_e32 v16, vcc_lo, 0, v17, vcc_lo
	s_delay_alu instid0(VALU_DEP_2) | instskip(NEXT) | instid1(VALU_DEP_2)
	v_add_co_u32 v14, vcc_lo, v15, v14
	v_add_co_ci_u32_e32 v14, vcc_lo, v16, v18, vcc_lo
	v_add_co_ci_u32_e32 v15, vcc_lo, 0, v19, vcc_lo
	s_delay_alu instid0(VALU_DEP_2) | instskip(NEXT) | instid1(VALU_DEP_2)
	v_add_co_u32 v13, vcc_lo, v14, v13
	v_add_co_ci_u32_e32 v14, vcc_lo, 0, v15, vcc_lo
	s_delay_alu instid0(VALU_DEP_2) | instskip(NEXT) | instid1(VALU_DEP_2)
	v_add_co_u32 v15, vcc_lo, v9, v13
	v_add_co_ci_u32_e32 v17, vcc_lo, v10, v14, vcc_lo
	s_delay_alu instid0(VALU_DEP_2) | instskip(SKIP_1) | instid1(VALU_DEP_3)
	v_mul_hi_u32 v18, v11, v15
	v_mad_u64_u32 v[13:14], null, v12, v15, 0
	v_mad_u64_u32 v[9:10], null, v11, v17, 0
	;; [unrolled: 1-line block ×3, first 2 shown]
	s_delay_alu instid0(VALU_DEP_2) | instskip(NEXT) | instid1(VALU_DEP_3)
	v_add_co_u32 v9, vcc_lo, v18, v9
	v_add_co_ci_u32_e32 v10, vcc_lo, 0, v10, vcc_lo
	s_delay_alu instid0(VALU_DEP_2) | instskip(NEXT) | instid1(VALU_DEP_2)
	v_add_co_u32 v9, vcc_lo, v9, v13
	v_add_co_ci_u32_e32 v9, vcc_lo, v10, v14, vcc_lo
	v_add_co_ci_u32_e32 v10, vcc_lo, 0, v16, vcc_lo
	s_delay_alu instid0(VALU_DEP_2) | instskip(NEXT) | instid1(VALU_DEP_2)
	v_add_co_u32 v13, vcc_lo, v9, v15
	v_add_co_ci_u32_e32 v14, vcc_lo, 0, v10, vcc_lo
	s_delay_alu instid0(VALU_DEP_2) | instskip(SKIP_1) | instid1(VALU_DEP_3)
	v_mul_lo_u32 v15, s39, v13
	v_mad_u64_u32 v[9:10], null, s38, v13, 0
	v_mul_lo_u32 v16, s38, v14
	s_delay_alu instid0(VALU_DEP_2) | instskip(NEXT) | instid1(VALU_DEP_2)
	v_sub_co_u32 v9, vcc_lo, v11, v9
	v_add3_u32 v10, v10, v16, v15
	s_delay_alu instid0(VALU_DEP_1) | instskip(NEXT) | instid1(VALU_DEP_1)
	v_sub_nc_u32_e32 v15, v12, v10
	v_subrev_co_ci_u32_e64 v11, s7, s39, v15, vcc_lo
	v_add_co_u32 v15, s7, v13, 2
	s_delay_alu instid0(VALU_DEP_1) | instskip(SKIP_3) | instid1(VALU_DEP_3)
	v_add_co_ci_u32_e64 v16, s7, 0, v14, s7
	v_sub_co_u32 v17, s7, v9, s38
	v_sub_co_ci_u32_e32 v10, vcc_lo, v12, v10, vcc_lo
	v_subrev_co_ci_u32_e64 v11, s7, 0, v11, s7
	v_cmp_le_u32_e32 vcc_lo, s38, v17
	s_delay_alu instid0(VALU_DEP_3) | instskip(SKIP_1) | instid1(VALU_DEP_4)
	v_cmp_eq_u32_e64 s7, s39, v10
	v_cndmask_b32_e64 v12, 0, -1, vcc_lo
	v_cmp_le_u32_e32 vcc_lo, s39, v11
	v_cndmask_b32_e64 v17, 0, -1, vcc_lo
	v_cmp_le_u32_e32 vcc_lo, s38, v9
	;; [unrolled: 2-line block ×3, first 2 shown]
	v_cndmask_b32_e64 v18, 0, -1, vcc_lo
	v_cmp_eq_u32_e32 vcc_lo, s39, v11
	s_delay_alu instid0(VALU_DEP_2) | instskip(SKIP_3) | instid1(VALU_DEP_3)
	v_cndmask_b32_e64 v9, v18, v9, s7
	v_cndmask_b32_e32 v11, v17, v12, vcc_lo
	v_add_co_u32 v12, vcc_lo, v13, 1
	v_add_co_ci_u32_e32 v17, vcc_lo, 0, v14, vcc_lo
	v_cmp_ne_u32_e32 vcc_lo, 0, v11
	s_delay_alu instid0(VALU_DEP_2) | instskip(SKIP_1) | instid1(VALU_DEP_2)
	v_dual_cndmask_b32 v10, v17, v16 :: v_dual_cndmask_b32 v11, v12, v15
	v_cmp_ne_u32_e32 vcc_lo, 0, v9
	v_dual_cndmask_b32 v10, v14, v10 :: v_dual_cndmask_b32 v9, v13, v11
                                        ; implicit-def: $vgpr11
.LBB21_35:
	s_and_not1_saveexec_b32 s7, s9
	s_cbranch_execz .LBB21_37
; %bb.36:
	v_cvt_f32_u32_e32 v9, s38
	s_sub_i32 s9, 0, s38
	s_delay_alu instid0(VALU_DEP_1) | instskip(SKIP_2) | instid1(VALU_DEP_1)
	v_rcp_iflag_f32_e32 v9, v9
	s_waitcnt_depctr 0xfff
	v_mul_f32_e32 v9, 0x4f7ffffe, v9
	v_cvt_u32_f32_e32 v9, v9
	s_delay_alu instid0(VALU_DEP_1) | instskip(NEXT) | instid1(VALU_DEP_1)
	v_mul_lo_u32 v10, s9, v9
	v_mul_hi_u32 v10, v9, v10
	s_delay_alu instid0(VALU_DEP_1) | instskip(NEXT) | instid1(VALU_DEP_1)
	v_add_nc_u32_e32 v9, v9, v10
	v_mul_hi_u32 v9, v11, v9
	s_delay_alu instid0(VALU_DEP_1) | instskip(NEXT) | instid1(VALU_DEP_1)
	v_mul_lo_u32 v10, v9, s38
	v_sub_nc_u32_e32 v10, v11, v10
	v_add_nc_u32_e32 v11, 1, v9
	s_delay_alu instid0(VALU_DEP_2) | instskip(SKIP_1) | instid1(VALU_DEP_2)
	v_subrev_nc_u32_e32 v12, s38, v10
	v_cmp_le_u32_e32 vcc_lo, s38, v10
	v_dual_cndmask_b32 v10, v10, v12 :: v_dual_cndmask_b32 v9, v9, v11
	s_delay_alu instid0(VALU_DEP_1) | instskip(NEXT) | instid1(VALU_DEP_2)
	v_cmp_le_u32_e32 vcc_lo, s38, v10
	v_dual_mov_b32 v10, 0 :: v_dual_add_nc_u32 v11, 1, v9
	s_delay_alu instid0(VALU_DEP_1)
	v_cndmask_b32_e32 v9, v9, v11, vcc_lo
.LBB21_37:
	s_or_b32 exec_lo, exec_lo, s7
.LBB21_38:
	s_delay_alu instid0(SALU_CYCLE_1) | instskip(SKIP_2) | instid1(VALU_DEP_2)
	s_or_b32 exec_lo, exec_lo, s8
	v_or_b32_e32 v38, 0x500, v0
	v_dual_mov_b32 v11, v33 :: v_dual_mov_b32 v12, v34
	v_cmp_gt_u32_e64 s7, s52, v38
	s_delay_alu instid0(VALU_DEP_1)
	s_and_saveexec_b32 s9, s7
	s_cbranch_execz .LBB21_44
; %bb.39:
	v_add_co_u32 v13, s8, s40, v38
	s_delay_alu instid0(VALU_DEP_1) | instskip(SKIP_1) | instid1(VALU_DEP_2)
	v_add_co_ci_u32_e64 v14, null, s41, 0, s8
	v_mov_b32_e32 v11, 0
	v_or_b32_e32 v12, s39, v14
	s_delay_alu instid0(VALU_DEP_1) | instskip(SKIP_1) | instid1(SALU_CYCLE_1)
	v_cmp_ne_u64_e32 vcc_lo, 0, v[11:12]
                                        ; implicit-def: $vgpr11_vgpr12
	s_and_saveexec_b32 s8, vcc_lo
	s_xor_b32 s10, exec_lo, s8
	s_cbranch_execz .LBB21_41
; %bb.40:
	v_cvt_f32_u32_e32 v11, s38
	v_cvt_f32_u32_e32 v12, s39
	s_sub_u32 s8, 0, s38
	s_subb_u32 s11, 0, s39
	s_delay_alu instid0(VALU_DEP_1) | instskip(NEXT) | instid1(VALU_DEP_1)
	v_fmamk_f32 v11, v12, 0x4f800000, v11
	v_rcp_f32_e32 v11, v11
	s_waitcnt_depctr 0xfff
	v_mul_f32_e32 v11, 0x5f7ffffc, v11
	s_delay_alu instid0(VALU_DEP_1) | instskip(NEXT) | instid1(VALU_DEP_1)
	v_mul_f32_e32 v12, 0x2f800000, v11
	v_trunc_f32_e32 v12, v12
	s_delay_alu instid0(VALU_DEP_1) | instskip(SKIP_1) | instid1(VALU_DEP_2)
	v_fmamk_f32 v11, v12, 0xcf800000, v11
	v_cvt_u32_f32_e32 v12, v12
	v_cvt_u32_f32_e32 v11, v11
	s_delay_alu instid0(VALU_DEP_2) | instskip(NEXT) | instid1(VALU_DEP_2)
	v_mul_lo_u32 v15, s8, v12
	v_mul_hi_u32 v16, s8, v11
	v_mul_lo_u32 v17, s11, v11
	s_delay_alu instid0(VALU_DEP_2) | instskip(SKIP_1) | instid1(VALU_DEP_2)
	v_add_nc_u32_e32 v15, v16, v15
	v_mul_lo_u32 v16, s8, v11
	v_add_nc_u32_e32 v15, v15, v17
	s_delay_alu instid0(VALU_DEP_2) | instskip(NEXT) | instid1(VALU_DEP_2)
	v_mul_hi_u32 v17, v11, v16
	v_mul_lo_u32 v18, v11, v15
	v_mul_hi_u32 v19, v11, v15
	v_mul_hi_u32 v20, v12, v16
	v_mul_lo_u32 v16, v12, v16
	v_mul_hi_u32 v21, v12, v15
	v_mul_lo_u32 v15, v12, v15
	v_add_co_u32 v17, vcc_lo, v17, v18
	v_add_co_ci_u32_e32 v18, vcc_lo, 0, v19, vcc_lo
	s_delay_alu instid0(VALU_DEP_2) | instskip(NEXT) | instid1(VALU_DEP_2)
	v_add_co_u32 v16, vcc_lo, v17, v16
	v_add_co_ci_u32_e32 v16, vcc_lo, v18, v20, vcc_lo
	v_add_co_ci_u32_e32 v17, vcc_lo, 0, v21, vcc_lo
	s_delay_alu instid0(VALU_DEP_2) | instskip(NEXT) | instid1(VALU_DEP_2)
	v_add_co_u32 v15, vcc_lo, v16, v15
	v_add_co_ci_u32_e32 v16, vcc_lo, 0, v17, vcc_lo
	s_delay_alu instid0(VALU_DEP_2) | instskip(NEXT) | instid1(VALU_DEP_2)
	v_add_co_u32 v11, vcc_lo, v11, v15
	v_add_co_ci_u32_e32 v12, vcc_lo, v12, v16, vcc_lo
	s_delay_alu instid0(VALU_DEP_2) | instskip(SKIP_1) | instid1(VALU_DEP_3)
	v_mul_hi_u32 v15, s8, v11
	v_mul_lo_u32 v17, s11, v11
	v_mul_lo_u32 v16, s8, v12
	s_delay_alu instid0(VALU_DEP_1) | instskip(SKIP_1) | instid1(VALU_DEP_2)
	v_add_nc_u32_e32 v15, v15, v16
	v_mul_lo_u32 v16, s8, v11
	v_add_nc_u32_e32 v15, v15, v17
	s_delay_alu instid0(VALU_DEP_2) | instskip(NEXT) | instid1(VALU_DEP_2)
	v_mul_hi_u32 v17, v11, v16
	v_mul_lo_u32 v18, v11, v15
	v_mul_hi_u32 v19, v11, v15
	v_mul_hi_u32 v20, v12, v16
	v_mul_lo_u32 v16, v12, v16
	v_mul_hi_u32 v21, v12, v15
	v_mul_lo_u32 v15, v12, v15
	v_add_co_u32 v17, vcc_lo, v17, v18
	v_add_co_ci_u32_e32 v18, vcc_lo, 0, v19, vcc_lo
	s_delay_alu instid0(VALU_DEP_2) | instskip(NEXT) | instid1(VALU_DEP_2)
	v_add_co_u32 v16, vcc_lo, v17, v16
	v_add_co_ci_u32_e32 v16, vcc_lo, v18, v20, vcc_lo
	v_add_co_ci_u32_e32 v17, vcc_lo, 0, v21, vcc_lo
	s_delay_alu instid0(VALU_DEP_2) | instskip(NEXT) | instid1(VALU_DEP_2)
	v_add_co_u32 v15, vcc_lo, v16, v15
	v_add_co_ci_u32_e32 v16, vcc_lo, 0, v17, vcc_lo
	s_delay_alu instid0(VALU_DEP_2) | instskip(NEXT) | instid1(VALU_DEP_2)
	v_add_co_u32 v17, vcc_lo, v11, v15
	v_add_co_ci_u32_e32 v19, vcc_lo, v12, v16, vcc_lo
	s_delay_alu instid0(VALU_DEP_2) | instskip(SKIP_1) | instid1(VALU_DEP_3)
	v_mul_hi_u32 v20, v13, v17
	v_mad_u64_u32 v[15:16], null, v14, v17, 0
	v_mad_u64_u32 v[11:12], null, v13, v19, 0
	;; [unrolled: 1-line block ×3, first 2 shown]
	s_delay_alu instid0(VALU_DEP_2) | instskip(NEXT) | instid1(VALU_DEP_3)
	v_add_co_u32 v11, vcc_lo, v20, v11
	v_add_co_ci_u32_e32 v12, vcc_lo, 0, v12, vcc_lo
	s_delay_alu instid0(VALU_DEP_2) | instskip(NEXT) | instid1(VALU_DEP_2)
	v_add_co_u32 v11, vcc_lo, v11, v15
	v_add_co_ci_u32_e32 v11, vcc_lo, v12, v16, vcc_lo
	v_add_co_ci_u32_e32 v12, vcc_lo, 0, v18, vcc_lo
	s_delay_alu instid0(VALU_DEP_2) | instskip(NEXT) | instid1(VALU_DEP_2)
	v_add_co_u32 v15, vcc_lo, v11, v17
	v_add_co_ci_u32_e32 v16, vcc_lo, 0, v12, vcc_lo
	s_delay_alu instid0(VALU_DEP_2) | instskip(SKIP_1) | instid1(VALU_DEP_3)
	v_mul_lo_u32 v17, s39, v15
	v_mad_u64_u32 v[11:12], null, s38, v15, 0
	v_mul_lo_u32 v18, s38, v16
	s_delay_alu instid0(VALU_DEP_2) | instskip(NEXT) | instid1(VALU_DEP_2)
	v_sub_co_u32 v11, vcc_lo, v13, v11
	v_add3_u32 v12, v12, v18, v17
	s_delay_alu instid0(VALU_DEP_1) | instskip(NEXT) | instid1(VALU_DEP_1)
	v_sub_nc_u32_e32 v17, v14, v12
	v_subrev_co_ci_u32_e64 v13, s8, s39, v17, vcc_lo
	v_add_co_u32 v17, s8, v15, 2
	s_delay_alu instid0(VALU_DEP_1) | instskip(SKIP_3) | instid1(VALU_DEP_3)
	v_add_co_ci_u32_e64 v18, s8, 0, v16, s8
	v_sub_co_u32 v19, s8, v11, s38
	v_sub_co_ci_u32_e32 v12, vcc_lo, v14, v12, vcc_lo
	v_subrev_co_ci_u32_e64 v13, s8, 0, v13, s8
	v_cmp_le_u32_e32 vcc_lo, s38, v19
	s_delay_alu instid0(VALU_DEP_3) | instskip(SKIP_1) | instid1(VALU_DEP_4)
	v_cmp_eq_u32_e64 s8, s39, v12
	v_cndmask_b32_e64 v14, 0, -1, vcc_lo
	v_cmp_le_u32_e32 vcc_lo, s39, v13
	v_cndmask_b32_e64 v19, 0, -1, vcc_lo
	v_cmp_le_u32_e32 vcc_lo, s38, v11
	;; [unrolled: 2-line block ×3, first 2 shown]
	v_cndmask_b32_e64 v20, 0, -1, vcc_lo
	v_cmp_eq_u32_e32 vcc_lo, s39, v13
	s_delay_alu instid0(VALU_DEP_2) | instskip(SKIP_3) | instid1(VALU_DEP_3)
	v_cndmask_b32_e64 v11, v20, v11, s8
	v_cndmask_b32_e32 v13, v19, v14, vcc_lo
	v_add_co_u32 v14, vcc_lo, v15, 1
	v_add_co_ci_u32_e32 v19, vcc_lo, 0, v16, vcc_lo
	v_cmp_ne_u32_e32 vcc_lo, 0, v13
	s_delay_alu instid0(VALU_DEP_2) | instskip(SKIP_1) | instid1(VALU_DEP_2)
	v_dual_cndmask_b32 v12, v19, v18 :: v_dual_cndmask_b32 v13, v14, v17
	v_cmp_ne_u32_e32 vcc_lo, 0, v11
	v_dual_cndmask_b32 v12, v16, v12 :: v_dual_cndmask_b32 v11, v15, v13
                                        ; implicit-def: $vgpr13
.LBB21_41:
	s_and_not1_saveexec_b32 s8, s10
	s_cbranch_execz .LBB21_43
; %bb.42:
	v_cvt_f32_u32_e32 v11, s38
	s_sub_i32 s10, 0, s38
	s_delay_alu instid0(VALU_DEP_1) | instskip(SKIP_2) | instid1(VALU_DEP_1)
	v_rcp_iflag_f32_e32 v11, v11
	s_waitcnt_depctr 0xfff
	v_mul_f32_e32 v11, 0x4f7ffffe, v11
	v_cvt_u32_f32_e32 v11, v11
	s_delay_alu instid0(VALU_DEP_1) | instskip(NEXT) | instid1(VALU_DEP_1)
	v_mul_lo_u32 v12, s10, v11
	v_mul_hi_u32 v12, v11, v12
	s_delay_alu instid0(VALU_DEP_1) | instskip(NEXT) | instid1(VALU_DEP_1)
	v_add_nc_u32_e32 v11, v11, v12
	v_mul_hi_u32 v11, v13, v11
	s_delay_alu instid0(VALU_DEP_1) | instskip(NEXT) | instid1(VALU_DEP_1)
	v_mul_lo_u32 v12, v11, s38
	v_sub_nc_u32_e32 v12, v13, v12
	v_add_nc_u32_e32 v13, 1, v11
	s_delay_alu instid0(VALU_DEP_2) | instskip(SKIP_1) | instid1(VALU_DEP_2)
	v_subrev_nc_u32_e32 v14, s38, v12
	v_cmp_le_u32_e32 vcc_lo, s38, v12
	v_dual_cndmask_b32 v12, v12, v14 :: v_dual_cndmask_b32 v11, v11, v13
	s_delay_alu instid0(VALU_DEP_1) | instskip(NEXT) | instid1(VALU_DEP_2)
	v_cmp_le_u32_e32 vcc_lo, s38, v12
	v_dual_mov_b32 v12, 0 :: v_dual_add_nc_u32 v13, 1, v11
	s_delay_alu instid0(VALU_DEP_1)
	v_cndmask_b32_e32 v11, v11, v13, vcc_lo
.LBB21_43:
	s_or_b32 exec_lo, exec_lo, s8
.LBB21_44:
	s_delay_alu instid0(SALU_CYCLE_1) | instskip(SKIP_2) | instid1(VALU_DEP_2)
	s_or_b32 exec_lo, exec_lo, s9
	v_or_b32_e32 v40, 0x600, v0
	v_dual_mov_b32 v13, v33 :: v_dual_mov_b32 v14, v34
	v_cmp_gt_u32_e64 s8, s52, v40
	s_delay_alu instid0(VALU_DEP_1)
	s_and_saveexec_b32 s10, s8
	s_cbranch_execz .LBB21_50
; %bb.45:
	v_add_co_u32 v15, s9, s40, v40
	s_delay_alu instid0(VALU_DEP_1) | instskip(SKIP_1) | instid1(VALU_DEP_2)
	v_add_co_ci_u32_e64 v16, null, s41, 0, s9
	v_mov_b32_e32 v13, 0
	v_or_b32_e32 v14, s39, v16
	s_delay_alu instid0(VALU_DEP_1) | instskip(SKIP_1) | instid1(SALU_CYCLE_1)
	v_cmp_ne_u64_e32 vcc_lo, 0, v[13:14]
                                        ; implicit-def: $vgpr13_vgpr14
	s_and_saveexec_b32 s9, vcc_lo
	s_xor_b32 s11, exec_lo, s9
	s_cbranch_execz .LBB21_47
; %bb.46:
	v_cvt_f32_u32_e32 v13, s38
	v_cvt_f32_u32_e32 v14, s39
	s_sub_u32 s9, 0, s38
	s_subb_u32 s12, 0, s39
	s_delay_alu instid0(VALU_DEP_1) | instskip(NEXT) | instid1(VALU_DEP_1)
	v_fmamk_f32 v13, v14, 0x4f800000, v13
	v_rcp_f32_e32 v13, v13
	s_waitcnt_depctr 0xfff
	v_mul_f32_e32 v13, 0x5f7ffffc, v13
	s_delay_alu instid0(VALU_DEP_1) | instskip(NEXT) | instid1(VALU_DEP_1)
	v_mul_f32_e32 v14, 0x2f800000, v13
	v_trunc_f32_e32 v14, v14
	s_delay_alu instid0(VALU_DEP_1) | instskip(SKIP_1) | instid1(VALU_DEP_2)
	v_fmamk_f32 v13, v14, 0xcf800000, v13
	v_cvt_u32_f32_e32 v14, v14
	v_cvt_u32_f32_e32 v13, v13
	s_delay_alu instid0(VALU_DEP_2) | instskip(NEXT) | instid1(VALU_DEP_2)
	v_mul_lo_u32 v17, s9, v14
	v_mul_hi_u32 v18, s9, v13
	v_mul_lo_u32 v19, s12, v13
	s_delay_alu instid0(VALU_DEP_2) | instskip(SKIP_1) | instid1(VALU_DEP_2)
	v_add_nc_u32_e32 v17, v18, v17
	v_mul_lo_u32 v18, s9, v13
	v_add_nc_u32_e32 v17, v17, v19
	s_delay_alu instid0(VALU_DEP_2) | instskip(NEXT) | instid1(VALU_DEP_2)
	v_mul_hi_u32 v19, v13, v18
	v_mul_lo_u32 v20, v13, v17
	v_mul_hi_u32 v21, v13, v17
	v_mul_hi_u32 v22, v14, v18
	v_mul_lo_u32 v18, v14, v18
	v_mul_hi_u32 v23, v14, v17
	v_mul_lo_u32 v17, v14, v17
	v_add_co_u32 v19, vcc_lo, v19, v20
	v_add_co_ci_u32_e32 v20, vcc_lo, 0, v21, vcc_lo
	s_delay_alu instid0(VALU_DEP_2) | instskip(NEXT) | instid1(VALU_DEP_2)
	v_add_co_u32 v18, vcc_lo, v19, v18
	v_add_co_ci_u32_e32 v18, vcc_lo, v20, v22, vcc_lo
	v_add_co_ci_u32_e32 v19, vcc_lo, 0, v23, vcc_lo
	s_delay_alu instid0(VALU_DEP_2) | instskip(NEXT) | instid1(VALU_DEP_2)
	v_add_co_u32 v17, vcc_lo, v18, v17
	v_add_co_ci_u32_e32 v18, vcc_lo, 0, v19, vcc_lo
	s_delay_alu instid0(VALU_DEP_2) | instskip(NEXT) | instid1(VALU_DEP_2)
	v_add_co_u32 v13, vcc_lo, v13, v17
	v_add_co_ci_u32_e32 v14, vcc_lo, v14, v18, vcc_lo
	s_delay_alu instid0(VALU_DEP_2) | instskip(SKIP_1) | instid1(VALU_DEP_3)
	v_mul_hi_u32 v17, s9, v13
	v_mul_lo_u32 v19, s12, v13
	v_mul_lo_u32 v18, s9, v14
	s_delay_alu instid0(VALU_DEP_1) | instskip(SKIP_1) | instid1(VALU_DEP_2)
	v_add_nc_u32_e32 v17, v17, v18
	v_mul_lo_u32 v18, s9, v13
	v_add_nc_u32_e32 v17, v17, v19
	s_delay_alu instid0(VALU_DEP_2) | instskip(NEXT) | instid1(VALU_DEP_2)
	v_mul_hi_u32 v19, v13, v18
	v_mul_lo_u32 v20, v13, v17
	v_mul_hi_u32 v21, v13, v17
	v_mul_hi_u32 v22, v14, v18
	v_mul_lo_u32 v18, v14, v18
	v_mul_hi_u32 v23, v14, v17
	v_mul_lo_u32 v17, v14, v17
	v_add_co_u32 v19, vcc_lo, v19, v20
	v_add_co_ci_u32_e32 v20, vcc_lo, 0, v21, vcc_lo
	s_delay_alu instid0(VALU_DEP_2) | instskip(NEXT) | instid1(VALU_DEP_2)
	v_add_co_u32 v18, vcc_lo, v19, v18
	v_add_co_ci_u32_e32 v18, vcc_lo, v20, v22, vcc_lo
	v_add_co_ci_u32_e32 v19, vcc_lo, 0, v23, vcc_lo
	s_delay_alu instid0(VALU_DEP_2) | instskip(NEXT) | instid1(VALU_DEP_2)
	v_add_co_u32 v17, vcc_lo, v18, v17
	v_add_co_ci_u32_e32 v18, vcc_lo, 0, v19, vcc_lo
	s_delay_alu instid0(VALU_DEP_2) | instskip(NEXT) | instid1(VALU_DEP_2)
	v_add_co_u32 v19, vcc_lo, v13, v17
	v_add_co_ci_u32_e32 v21, vcc_lo, v14, v18, vcc_lo
	s_delay_alu instid0(VALU_DEP_2) | instskip(SKIP_1) | instid1(VALU_DEP_3)
	v_mul_hi_u32 v22, v15, v19
	v_mad_u64_u32 v[17:18], null, v16, v19, 0
	v_mad_u64_u32 v[13:14], null, v15, v21, 0
	;; [unrolled: 1-line block ×3, first 2 shown]
	s_delay_alu instid0(VALU_DEP_2) | instskip(NEXT) | instid1(VALU_DEP_3)
	v_add_co_u32 v13, vcc_lo, v22, v13
	v_add_co_ci_u32_e32 v14, vcc_lo, 0, v14, vcc_lo
	s_delay_alu instid0(VALU_DEP_2) | instskip(NEXT) | instid1(VALU_DEP_2)
	v_add_co_u32 v13, vcc_lo, v13, v17
	v_add_co_ci_u32_e32 v13, vcc_lo, v14, v18, vcc_lo
	v_add_co_ci_u32_e32 v14, vcc_lo, 0, v20, vcc_lo
	s_delay_alu instid0(VALU_DEP_2) | instskip(NEXT) | instid1(VALU_DEP_2)
	v_add_co_u32 v17, vcc_lo, v13, v19
	v_add_co_ci_u32_e32 v18, vcc_lo, 0, v14, vcc_lo
	s_delay_alu instid0(VALU_DEP_2) | instskip(SKIP_1) | instid1(VALU_DEP_3)
	v_mul_lo_u32 v19, s39, v17
	v_mad_u64_u32 v[13:14], null, s38, v17, 0
	v_mul_lo_u32 v20, s38, v18
	s_delay_alu instid0(VALU_DEP_2) | instskip(NEXT) | instid1(VALU_DEP_2)
	v_sub_co_u32 v13, vcc_lo, v15, v13
	v_add3_u32 v14, v14, v20, v19
	s_delay_alu instid0(VALU_DEP_1) | instskip(NEXT) | instid1(VALU_DEP_1)
	v_sub_nc_u32_e32 v19, v16, v14
	v_subrev_co_ci_u32_e64 v15, s9, s39, v19, vcc_lo
	v_add_co_u32 v19, s9, v17, 2
	s_delay_alu instid0(VALU_DEP_1) | instskip(SKIP_3) | instid1(VALU_DEP_3)
	v_add_co_ci_u32_e64 v20, s9, 0, v18, s9
	v_sub_co_u32 v21, s9, v13, s38
	v_sub_co_ci_u32_e32 v14, vcc_lo, v16, v14, vcc_lo
	v_subrev_co_ci_u32_e64 v15, s9, 0, v15, s9
	v_cmp_le_u32_e32 vcc_lo, s38, v21
	s_delay_alu instid0(VALU_DEP_3) | instskip(SKIP_1) | instid1(VALU_DEP_4)
	v_cmp_eq_u32_e64 s9, s39, v14
	v_cndmask_b32_e64 v16, 0, -1, vcc_lo
	v_cmp_le_u32_e32 vcc_lo, s39, v15
	v_cndmask_b32_e64 v21, 0, -1, vcc_lo
	v_cmp_le_u32_e32 vcc_lo, s38, v13
	;; [unrolled: 2-line block ×3, first 2 shown]
	v_cndmask_b32_e64 v22, 0, -1, vcc_lo
	v_cmp_eq_u32_e32 vcc_lo, s39, v15
	s_delay_alu instid0(VALU_DEP_2) | instskip(SKIP_3) | instid1(VALU_DEP_3)
	v_cndmask_b32_e64 v13, v22, v13, s9
	v_cndmask_b32_e32 v15, v21, v16, vcc_lo
	v_add_co_u32 v16, vcc_lo, v17, 1
	v_add_co_ci_u32_e32 v21, vcc_lo, 0, v18, vcc_lo
	v_cmp_ne_u32_e32 vcc_lo, 0, v15
	s_delay_alu instid0(VALU_DEP_2) | instskip(SKIP_1) | instid1(VALU_DEP_2)
	v_dual_cndmask_b32 v14, v21, v20 :: v_dual_cndmask_b32 v15, v16, v19
	v_cmp_ne_u32_e32 vcc_lo, 0, v13
	v_dual_cndmask_b32 v14, v18, v14 :: v_dual_cndmask_b32 v13, v17, v15
                                        ; implicit-def: $vgpr15
.LBB21_47:
	s_and_not1_saveexec_b32 s9, s11
	s_cbranch_execz .LBB21_49
; %bb.48:
	v_cvt_f32_u32_e32 v13, s38
	s_sub_i32 s11, 0, s38
	s_delay_alu instid0(VALU_DEP_1) | instskip(SKIP_2) | instid1(VALU_DEP_1)
	v_rcp_iflag_f32_e32 v13, v13
	s_waitcnt_depctr 0xfff
	v_mul_f32_e32 v13, 0x4f7ffffe, v13
	v_cvt_u32_f32_e32 v13, v13
	s_delay_alu instid0(VALU_DEP_1) | instskip(NEXT) | instid1(VALU_DEP_1)
	v_mul_lo_u32 v14, s11, v13
	v_mul_hi_u32 v14, v13, v14
	s_delay_alu instid0(VALU_DEP_1) | instskip(NEXT) | instid1(VALU_DEP_1)
	v_add_nc_u32_e32 v13, v13, v14
	v_mul_hi_u32 v13, v15, v13
	s_delay_alu instid0(VALU_DEP_1) | instskip(NEXT) | instid1(VALU_DEP_1)
	v_mul_lo_u32 v14, v13, s38
	v_sub_nc_u32_e32 v14, v15, v14
	v_add_nc_u32_e32 v15, 1, v13
	s_delay_alu instid0(VALU_DEP_2) | instskip(SKIP_1) | instid1(VALU_DEP_2)
	v_subrev_nc_u32_e32 v16, s38, v14
	v_cmp_le_u32_e32 vcc_lo, s38, v14
	v_dual_cndmask_b32 v14, v14, v16 :: v_dual_cndmask_b32 v13, v13, v15
	s_delay_alu instid0(VALU_DEP_1) | instskip(NEXT) | instid1(VALU_DEP_2)
	v_cmp_le_u32_e32 vcc_lo, s38, v14
	v_dual_mov_b32 v14, 0 :: v_dual_add_nc_u32 v15, 1, v13
	s_delay_alu instid0(VALU_DEP_1)
	v_cndmask_b32_e32 v13, v13, v15, vcc_lo
.LBB21_49:
	s_or_b32 exec_lo, exec_lo, s9
.LBB21_50:
	s_delay_alu instid0(SALU_CYCLE_1) | instskip(SKIP_2) | instid1(VALU_DEP_2)
	s_or_b32 exec_lo, exec_lo, s10
	v_or_b32_e32 v41, 0x700, v0
	v_dual_mov_b32 v15, v33 :: v_dual_mov_b32 v16, v34
	v_cmp_gt_u32_e64 s9, s52, v41
	s_delay_alu instid0(VALU_DEP_1)
	s_and_saveexec_b32 s11, s9
	s_cbranch_execz .LBB21_56
; %bb.51:
	v_add_co_u32 v17, s10, s40, v41
	s_delay_alu instid0(VALU_DEP_1) | instskip(SKIP_1) | instid1(VALU_DEP_2)
	v_add_co_ci_u32_e64 v18, null, s41, 0, s10
	v_mov_b32_e32 v15, 0
	v_or_b32_e32 v16, s39, v18
	s_delay_alu instid0(VALU_DEP_1) | instskip(SKIP_1) | instid1(SALU_CYCLE_1)
	v_cmp_ne_u64_e32 vcc_lo, 0, v[15:16]
                                        ; implicit-def: $vgpr15_vgpr16
	s_and_saveexec_b32 s10, vcc_lo
	s_xor_b32 s12, exec_lo, s10
	s_cbranch_execz .LBB21_53
; %bb.52:
	v_cvt_f32_u32_e32 v15, s38
	v_cvt_f32_u32_e32 v16, s39
	s_sub_u32 s10, 0, s38
	s_subb_u32 s13, 0, s39
	s_delay_alu instid0(VALU_DEP_1) | instskip(NEXT) | instid1(VALU_DEP_1)
	v_fmamk_f32 v15, v16, 0x4f800000, v15
	v_rcp_f32_e32 v15, v15
	s_waitcnt_depctr 0xfff
	v_mul_f32_e32 v15, 0x5f7ffffc, v15
	s_delay_alu instid0(VALU_DEP_1) | instskip(NEXT) | instid1(VALU_DEP_1)
	v_mul_f32_e32 v16, 0x2f800000, v15
	v_trunc_f32_e32 v16, v16
	s_delay_alu instid0(VALU_DEP_1) | instskip(SKIP_1) | instid1(VALU_DEP_2)
	v_fmamk_f32 v15, v16, 0xcf800000, v15
	v_cvt_u32_f32_e32 v16, v16
	v_cvt_u32_f32_e32 v15, v15
	s_delay_alu instid0(VALU_DEP_2) | instskip(NEXT) | instid1(VALU_DEP_2)
	v_mul_lo_u32 v19, s10, v16
	v_mul_hi_u32 v20, s10, v15
	v_mul_lo_u32 v21, s13, v15
	s_delay_alu instid0(VALU_DEP_2) | instskip(SKIP_1) | instid1(VALU_DEP_2)
	v_add_nc_u32_e32 v19, v20, v19
	v_mul_lo_u32 v20, s10, v15
	v_add_nc_u32_e32 v19, v19, v21
	s_delay_alu instid0(VALU_DEP_2) | instskip(NEXT) | instid1(VALU_DEP_2)
	v_mul_hi_u32 v21, v15, v20
	v_mul_lo_u32 v22, v15, v19
	v_mul_hi_u32 v23, v15, v19
	v_mul_hi_u32 v24, v16, v20
	v_mul_lo_u32 v20, v16, v20
	v_mul_hi_u32 v25, v16, v19
	v_mul_lo_u32 v19, v16, v19
	v_add_co_u32 v21, vcc_lo, v21, v22
	v_add_co_ci_u32_e32 v22, vcc_lo, 0, v23, vcc_lo
	s_delay_alu instid0(VALU_DEP_2) | instskip(NEXT) | instid1(VALU_DEP_2)
	v_add_co_u32 v20, vcc_lo, v21, v20
	v_add_co_ci_u32_e32 v20, vcc_lo, v22, v24, vcc_lo
	v_add_co_ci_u32_e32 v21, vcc_lo, 0, v25, vcc_lo
	s_delay_alu instid0(VALU_DEP_2) | instskip(NEXT) | instid1(VALU_DEP_2)
	v_add_co_u32 v19, vcc_lo, v20, v19
	v_add_co_ci_u32_e32 v20, vcc_lo, 0, v21, vcc_lo
	s_delay_alu instid0(VALU_DEP_2) | instskip(NEXT) | instid1(VALU_DEP_2)
	v_add_co_u32 v15, vcc_lo, v15, v19
	v_add_co_ci_u32_e32 v16, vcc_lo, v16, v20, vcc_lo
	s_delay_alu instid0(VALU_DEP_2) | instskip(SKIP_1) | instid1(VALU_DEP_3)
	v_mul_hi_u32 v19, s10, v15
	v_mul_lo_u32 v21, s13, v15
	v_mul_lo_u32 v20, s10, v16
	s_delay_alu instid0(VALU_DEP_1) | instskip(SKIP_1) | instid1(VALU_DEP_2)
	v_add_nc_u32_e32 v19, v19, v20
	v_mul_lo_u32 v20, s10, v15
	v_add_nc_u32_e32 v19, v19, v21
	s_delay_alu instid0(VALU_DEP_2) | instskip(NEXT) | instid1(VALU_DEP_2)
	v_mul_hi_u32 v21, v15, v20
	v_mul_lo_u32 v22, v15, v19
	v_mul_hi_u32 v23, v15, v19
	v_mul_hi_u32 v24, v16, v20
	v_mul_lo_u32 v20, v16, v20
	v_mul_hi_u32 v25, v16, v19
	v_mul_lo_u32 v19, v16, v19
	v_add_co_u32 v21, vcc_lo, v21, v22
	v_add_co_ci_u32_e32 v22, vcc_lo, 0, v23, vcc_lo
	s_delay_alu instid0(VALU_DEP_2) | instskip(NEXT) | instid1(VALU_DEP_2)
	v_add_co_u32 v20, vcc_lo, v21, v20
	v_add_co_ci_u32_e32 v20, vcc_lo, v22, v24, vcc_lo
	v_add_co_ci_u32_e32 v21, vcc_lo, 0, v25, vcc_lo
	s_delay_alu instid0(VALU_DEP_2) | instskip(NEXT) | instid1(VALU_DEP_2)
	v_add_co_u32 v19, vcc_lo, v20, v19
	v_add_co_ci_u32_e32 v20, vcc_lo, 0, v21, vcc_lo
	s_delay_alu instid0(VALU_DEP_2) | instskip(NEXT) | instid1(VALU_DEP_2)
	v_add_co_u32 v21, vcc_lo, v15, v19
	v_add_co_ci_u32_e32 v23, vcc_lo, v16, v20, vcc_lo
	s_delay_alu instid0(VALU_DEP_2) | instskip(SKIP_1) | instid1(VALU_DEP_3)
	v_mul_hi_u32 v24, v17, v21
	v_mad_u64_u32 v[19:20], null, v18, v21, 0
	v_mad_u64_u32 v[15:16], null, v17, v23, 0
	;; [unrolled: 1-line block ×3, first 2 shown]
	s_delay_alu instid0(VALU_DEP_2) | instskip(NEXT) | instid1(VALU_DEP_3)
	v_add_co_u32 v15, vcc_lo, v24, v15
	v_add_co_ci_u32_e32 v16, vcc_lo, 0, v16, vcc_lo
	s_delay_alu instid0(VALU_DEP_2) | instskip(NEXT) | instid1(VALU_DEP_2)
	v_add_co_u32 v15, vcc_lo, v15, v19
	v_add_co_ci_u32_e32 v15, vcc_lo, v16, v20, vcc_lo
	v_add_co_ci_u32_e32 v16, vcc_lo, 0, v22, vcc_lo
	s_delay_alu instid0(VALU_DEP_2) | instskip(NEXT) | instid1(VALU_DEP_2)
	v_add_co_u32 v19, vcc_lo, v15, v21
	v_add_co_ci_u32_e32 v20, vcc_lo, 0, v16, vcc_lo
	s_delay_alu instid0(VALU_DEP_2) | instskip(SKIP_1) | instid1(VALU_DEP_3)
	v_mul_lo_u32 v21, s39, v19
	v_mad_u64_u32 v[15:16], null, s38, v19, 0
	v_mul_lo_u32 v22, s38, v20
	s_delay_alu instid0(VALU_DEP_2) | instskip(NEXT) | instid1(VALU_DEP_2)
	v_sub_co_u32 v15, vcc_lo, v17, v15
	v_add3_u32 v16, v16, v22, v21
	s_delay_alu instid0(VALU_DEP_1) | instskip(NEXT) | instid1(VALU_DEP_1)
	v_sub_nc_u32_e32 v21, v18, v16
	v_subrev_co_ci_u32_e64 v17, s10, s39, v21, vcc_lo
	v_add_co_u32 v21, s10, v19, 2
	s_delay_alu instid0(VALU_DEP_1) | instskip(SKIP_3) | instid1(VALU_DEP_3)
	v_add_co_ci_u32_e64 v22, s10, 0, v20, s10
	v_sub_co_u32 v23, s10, v15, s38
	v_sub_co_ci_u32_e32 v16, vcc_lo, v18, v16, vcc_lo
	v_subrev_co_ci_u32_e64 v17, s10, 0, v17, s10
	v_cmp_le_u32_e32 vcc_lo, s38, v23
	s_delay_alu instid0(VALU_DEP_3) | instskip(SKIP_1) | instid1(VALU_DEP_4)
	v_cmp_eq_u32_e64 s10, s39, v16
	v_cndmask_b32_e64 v18, 0, -1, vcc_lo
	v_cmp_le_u32_e32 vcc_lo, s39, v17
	v_cndmask_b32_e64 v23, 0, -1, vcc_lo
	v_cmp_le_u32_e32 vcc_lo, s38, v15
	;; [unrolled: 2-line block ×3, first 2 shown]
	v_cndmask_b32_e64 v24, 0, -1, vcc_lo
	v_cmp_eq_u32_e32 vcc_lo, s39, v17
	s_delay_alu instid0(VALU_DEP_2) | instskip(SKIP_3) | instid1(VALU_DEP_3)
	v_cndmask_b32_e64 v15, v24, v15, s10
	v_cndmask_b32_e32 v17, v23, v18, vcc_lo
	v_add_co_u32 v18, vcc_lo, v19, 1
	v_add_co_ci_u32_e32 v23, vcc_lo, 0, v20, vcc_lo
	v_cmp_ne_u32_e32 vcc_lo, 0, v17
	s_delay_alu instid0(VALU_DEP_2) | instskip(SKIP_1) | instid1(VALU_DEP_2)
	v_dual_cndmask_b32 v16, v23, v22 :: v_dual_cndmask_b32 v17, v18, v21
	v_cmp_ne_u32_e32 vcc_lo, 0, v15
	v_dual_cndmask_b32 v16, v20, v16 :: v_dual_cndmask_b32 v15, v19, v17
                                        ; implicit-def: $vgpr17
.LBB21_53:
	s_and_not1_saveexec_b32 s10, s12
	s_cbranch_execz .LBB21_55
; %bb.54:
	v_cvt_f32_u32_e32 v15, s38
	s_sub_i32 s12, 0, s38
	s_delay_alu instid0(VALU_DEP_1) | instskip(SKIP_2) | instid1(VALU_DEP_1)
	v_rcp_iflag_f32_e32 v15, v15
	s_waitcnt_depctr 0xfff
	v_mul_f32_e32 v15, 0x4f7ffffe, v15
	v_cvt_u32_f32_e32 v15, v15
	s_delay_alu instid0(VALU_DEP_1) | instskip(NEXT) | instid1(VALU_DEP_1)
	v_mul_lo_u32 v16, s12, v15
	v_mul_hi_u32 v16, v15, v16
	s_delay_alu instid0(VALU_DEP_1) | instskip(NEXT) | instid1(VALU_DEP_1)
	v_add_nc_u32_e32 v15, v15, v16
	v_mul_hi_u32 v15, v17, v15
	s_delay_alu instid0(VALU_DEP_1) | instskip(NEXT) | instid1(VALU_DEP_1)
	v_mul_lo_u32 v16, v15, s38
	v_sub_nc_u32_e32 v16, v17, v16
	v_add_nc_u32_e32 v17, 1, v15
	s_delay_alu instid0(VALU_DEP_2) | instskip(SKIP_1) | instid1(VALU_DEP_2)
	v_subrev_nc_u32_e32 v18, s38, v16
	v_cmp_le_u32_e32 vcc_lo, s38, v16
	v_dual_cndmask_b32 v16, v16, v18 :: v_dual_cndmask_b32 v15, v15, v17
	s_delay_alu instid0(VALU_DEP_1) | instskip(NEXT) | instid1(VALU_DEP_2)
	v_cmp_le_u32_e32 vcc_lo, s38, v16
	v_dual_mov_b32 v16, 0 :: v_dual_add_nc_u32 v17, 1, v15
	s_delay_alu instid0(VALU_DEP_1)
	v_cndmask_b32_e32 v15, v15, v17, vcc_lo
.LBB21_55:
	s_or_b32 exec_lo, exec_lo, s10
.LBB21_56:
	s_delay_alu instid0(SALU_CYCLE_1) | instskip(SKIP_2) | instid1(VALU_DEP_2)
	s_or_b32 exec_lo, exec_lo, s11
	v_or_b32_e32 v42, 0x800, v0
	v_dual_mov_b32 v17, v33 :: v_dual_mov_b32 v18, v34
	v_cmp_gt_u32_e64 s10, s52, v42
	s_delay_alu instid0(VALU_DEP_1)
	s_and_saveexec_b32 s12, s10
	s_cbranch_execz .LBB21_62
; %bb.57:
	v_add_co_u32 v19, s11, s40, v42
	s_delay_alu instid0(VALU_DEP_1) | instskip(SKIP_1) | instid1(VALU_DEP_2)
	v_add_co_ci_u32_e64 v20, null, s41, 0, s11
	v_mov_b32_e32 v17, 0
	v_or_b32_e32 v18, s39, v20
	s_delay_alu instid0(VALU_DEP_1) | instskip(SKIP_1) | instid1(SALU_CYCLE_1)
	v_cmp_ne_u64_e32 vcc_lo, 0, v[17:18]
                                        ; implicit-def: $vgpr17_vgpr18
	s_and_saveexec_b32 s11, vcc_lo
	s_xor_b32 s13, exec_lo, s11
	s_cbranch_execz .LBB21_59
; %bb.58:
	v_cvt_f32_u32_e32 v17, s38
	v_cvt_f32_u32_e32 v18, s39
	s_sub_u32 s11, 0, s38
	s_subb_u32 s14, 0, s39
	s_delay_alu instid0(VALU_DEP_1) | instskip(NEXT) | instid1(VALU_DEP_1)
	v_fmamk_f32 v17, v18, 0x4f800000, v17
	v_rcp_f32_e32 v17, v17
	s_waitcnt_depctr 0xfff
	v_mul_f32_e32 v17, 0x5f7ffffc, v17
	s_delay_alu instid0(VALU_DEP_1) | instskip(NEXT) | instid1(VALU_DEP_1)
	v_mul_f32_e32 v18, 0x2f800000, v17
	v_trunc_f32_e32 v18, v18
	s_delay_alu instid0(VALU_DEP_1) | instskip(SKIP_1) | instid1(VALU_DEP_2)
	v_fmamk_f32 v17, v18, 0xcf800000, v17
	v_cvt_u32_f32_e32 v18, v18
	v_cvt_u32_f32_e32 v17, v17
	s_delay_alu instid0(VALU_DEP_2) | instskip(NEXT) | instid1(VALU_DEP_2)
	v_mul_lo_u32 v21, s11, v18
	v_mul_hi_u32 v22, s11, v17
	v_mul_lo_u32 v23, s14, v17
	s_delay_alu instid0(VALU_DEP_2) | instskip(SKIP_1) | instid1(VALU_DEP_2)
	v_add_nc_u32_e32 v21, v22, v21
	v_mul_lo_u32 v22, s11, v17
	v_add_nc_u32_e32 v21, v21, v23
	s_delay_alu instid0(VALU_DEP_2) | instskip(NEXT) | instid1(VALU_DEP_2)
	v_mul_hi_u32 v23, v17, v22
	v_mul_lo_u32 v24, v17, v21
	v_mul_hi_u32 v25, v17, v21
	v_mul_hi_u32 v26, v18, v22
	v_mul_lo_u32 v22, v18, v22
	v_mul_hi_u32 v27, v18, v21
	v_mul_lo_u32 v21, v18, v21
	v_add_co_u32 v23, vcc_lo, v23, v24
	v_add_co_ci_u32_e32 v24, vcc_lo, 0, v25, vcc_lo
	s_delay_alu instid0(VALU_DEP_2) | instskip(NEXT) | instid1(VALU_DEP_2)
	v_add_co_u32 v22, vcc_lo, v23, v22
	v_add_co_ci_u32_e32 v22, vcc_lo, v24, v26, vcc_lo
	v_add_co_ci_u32_e32 v23, vcc_lo, 0, v27, vcc_lo
	s_delay_alu instid0(VALU_DEP_2) | instskip(NEXT) | instid1(VALU_DEP_2)
	v_add_co_u32 v21, vcc_lo, v22, v21
	v_add_co_ci_u32_e32 v22, vcc_lo, 0, v23, vcc_lo
	s_delay_alu instid0(VALU_DEP_2) | instskip(NEXT) | instid1(VALU_DEP_2)
	v_add_co_u32 v17, vcc_lo, v17, v21
	v_add_co_ci_u32_e32 v18, vcc_lo, v18, v22, vcc_lo
	s_delay_alu instid0(VALU_DEP_2) | instskip(SKIP_1) | instid1(VALU_DEP_3)
	v_mul_hi_u32 v21, s11, v17
	v_mul_lo_u32 v23, s14, v17
	v_mul_lo_u32 v22, s11, v18
	s_delay_alu instid0(VALU_DEP_1) | instskip(SKIP_1) | instid1(VALU_DEP_2)
	v_add_nc_u32_e32 v21, v21, v22
	v_mul_lo_u32 v22, s11, v17
	v_add_nc_u32_e32 v21, v21, v23
	s_delay_alu instid0(VALU_DEP_2) | instskip(NEXT) | instid1(VALU_DEP_2)
	v_mul_hi_u32 v23, v17, v22
	v_mul_lo_u32 v24, v17, v21
	v_mul_hi_u32 v25, v17, v21
	v_mul_hi_u32 v26, v18, v22
	v_mul_lo_u32 v22, v18, v22
	v_mul_hi_u32 v27, v18, v21
	v_mul_lo_u32 v21, v18, v21
	v_add_co_u32 v23, vcc_lo, v23, v24
	v_add_co_ci_u32_e32 v24, vcc_lo, 0, v25, vcc_lo
	s_delay_alu instid0(VALU_DEP_2) | instskip(NEXT) | instid1(VALU_DEP_2)
	v_add_co_u32 v22, vcc_lo, v23, v22
	v_add_co_ci_u32_e32 v22, vcc_lo, v24, v26, vcc_lo
	v_add_co_ci_u32_e32 v23, vcc_lo, 0, v27, vcc_lo
	s_delay_alu instid0(VALU_DEP_2) | instskip(NEXT) | instid1(VALU_DEP_2)
	v_add_co_u32 v21, vcc_lo, v22, v21
	v_add_co_ci_u32_e32 v22, vcc_lo, 0, v23, vcc_lo
	s_delay_alu instid0(VALU_DEP_2) | instskip(NEXT) | instid1(VALU_DEP_2)
	v_add_co_u32 v23, vcc_lo, v17, v21
	v_add_co_ci_u32_e32 v25, vcc_lo, v18, v22, vcc_lo
	s_delay_alu instid0(VALU_DEP_2) | instskip(SKIP_1) | instid1(VALU_DEP_3)
	v_mul_hi_u32 v26, v19, v23
	v_mad_u64_u32 v[21:22], null, v20, v23, 0
	v_mad_u64_u32 v[17:18], null, v19, v25, 0
	;; [unrolled: 1-line block ×3, first 2 shown]
	s_delay_alu instid0(VALU_DEP_2) | instskip(NEXT) | instid1(VALU_DEP_3)
	v_add_co_u32 v17, vcc_lo, v26, v17
	v_add_co_ci_u32_e32 v18, vcc_lo, 0, v18, vcc_lo
	s_delay_alu instid0(VALU_DEP_2) | instskip(NEXT) | instid1(VALU_DEP_2)
	v_add_co_u32 v17, vcc_lo, v17, v21
	v_add_co_ci_u32_e32 v17, vcc_lo, v18, v22, vcc_lo
	v_add_co_ci_u32_e32 v18, vcc_lo, 0, v24, vcc_lo
	s_delay_alu instid0(VALU_DEP_2) | instskip(NEXT) | instid1(VALU_DEP_2)
	v_add_co_u32 v21, vcc_lo, v17, v23
	v_add_co_ci_u32_e32 v22, vcc_lo, 0, v18, vcc_lo
	s_delay_alu instid0(VALU_DEP_2) | instskip(SKIP_1) | instid1(VALU_DEP_3)
	v_mul_lo_u32 v23, s39, v21
	v_mad_u64_u32 v[17:18], null, s38, v21, 0
	v_mul_lo_u32 v24, s38, v22
	s_delay_alu instid0(VALU_DEP_2) | instskip(NEXT) | instid1(VALU_DEP_2)
	v_sub_co_u32 v17, vcc_lo, v19, v17
	v_add3_u32 v18, v18, v24, v23
	s_delay_alu instid0(VALU_DEP_1) | instskip(NEXT) | instid1(VALU_DEP_1)
	v_sub_nc_u32_e32 v23, v20, v18
	v_subrev_co_ci_u32_e64 v19, s11, s39, v23, vcc_lo
	v_add_co_u32 v23, s11, v21, 2
	s_delay_alu instid0(VALU_DEP_1) | instskip(SKIP_3) | instid1(VALU_DEP_3)
	v_add_co_ci_u32_e64 v24, s11, 0, v22, s11
	v_sub_co_u32 v25, s11, v17, s38
	v_sub_co_ci_u32_e32 v18, vcc_lo, v20, v18, vcc_lo
	v_subrev_co_ci_u32_e64 v19, s11, 0, v19, s11
	v_cmp_le_u32_e32 vcc_lo, s38, v25
	s_delay_alu instid0(VALU_DEP_3) | instskip(SKIP_1) | instid1(VALU_DEP_4)
	v_cmp_eq_u32_e64 s11, s39, v18
	v_cndmask_b32_e64 v20, 0, -1, vcc_lo
	v_cmp_le_u32_e32 vcc_lo, s39, v19
	v_cndmask_b32_e64 v25, 0, -1, vcc_lo
	v_cmp_le_u32_e32 vcc_lo, s38, v17
	;; [unrolled: 2-line block ×3, first 2 shown]
	v_cndmask_b32_e64 v26, 0, -1, vcc_lo
	v_cmp_eq_u32_e32 vcc_lo, s39, v19
	s_delay_alu instid0(VALU_DEP_2) | instskip(SKIP_3) | instid1(VALU_DEP_3)
	v_cndmask_b32_e64 v17, v26, v17, s11
	v_cndmask_b32_e32 v19, v25, v20, vcc_lo
	v_add_co_u32 v20, vcc_lo, v21, 1
	v_add_co_ci_u32_e32 v25, vcc_lo, 0, v22, vcc_lo
	v_cmp_ne_u32_e32 vcc_lo, 0, v19
	s_delay_alu instid0(VALU_DEP_2) | instskip(SKIP_1) | instid1(VALU_DEP_2)
	v_dual_cndmask_b32 v18, v25, v24 :: v_dual_cndmask_b32 v19, v20, v23
	v_cmp_ne_u32_e32 vcc_lo, 0, v17
	v_dual_cndmask_b32 v18, v22, v18 :: v_dual_cndmask_b32 v17, v21, v19
                                        ; implicit-def: $vgpr19
.LBB21_59:
	s_and_not1_saveexec_b32 s11, s13
	s_cbranch_execz .LBB21_61
; %bb.60:
	v_cvt_f32_u32_e32 v17, s38
	s_sub_i32 s13, 0, s38
	s_delay_alu instid0(VALU_DEP_1) | instskip(SKIP_2) | instid1(VALU_DEP_1)
	v_rcp_iflag_f32_e32 v17, v17
	s_waitcnt_depctr 0xfff
	v_mul_f32_e32 v17, 0x4f7ffffe, v17
	v_cvt_u32_f32_e32 v17, v17
	s_delay_alu instid0(VALU_DEP_1) | instskip(NEXT) | instid1(VALU_DEP_1)
	v_mul_lo_u32 v18, s13, v17
	v_mul_hi_u32 v18, v17, v18
	s_delay_alu instid0(VALU_DEP_1) | instskip(NEXT) | instid1(VALU_DEP_1)
	v_add_nc_u32_e32 v17, v17, v18
	v_mul_hi_u32 v17, v19, v17
	s_delay_alu instid0(VALU_DEP_1) | instskip(NEXT) | instid1(VALU_DEP_1)
	v_mul_lo_u32 v18, v17, s38
	v_sub_nc_u32_e32 v18, v19, v18
	v_add_nc_u32_e32 v19, 1, v17
	s_delay_alu instid0(VALU_DEP_2) | instskip(SKIP_1) | instid1(VALU_DEP_2)
	v_subrev_nc_u32_e32 v20, s38, v18
	v_cmp_le_u32_e32 vcc_lo, s38, v18
	v_dual_cndmask_b32 v18, v18, v20 :: v_dual_cndmask_b32 v17, v17, v19
	s_delay_alu instid0(VALU_DEP_1) | instskip(NEXT) | instid1(VALU_DEP_2)
	v_cmp_le_u32_e32 vcc_lo, s38, v18
	v_dual_mov_b32 v18, 0 :: v_dual_add_nc_u32 v19, 1, v17
	s_delay_alu instid0(VALU_DEP_1)
	v_cndmask_b32_e32 v17, v17, v19, vcc_lo
.LBB21_61:
	s_or_b32 exec_lo, exec_lo, s11
.LBB21_62:
	s_delay_alu instid0(SALU_CYCLE_1) | instskip(SKIP_2) | instid1(VALU_DEP_2)
	s_or_b32 exec_lo, exec_lo, s12
	v_or_b32_e32 v43, 0x900, v0
	v_dual_mov_b32 v19, v33 :: v_dual_mov_b32 v20, v34
	v_cmp_gt_u32_e64 s11, s52, v43
	s_delay_alu instid0(VALU_DEP_1)
	s_and_saveexec_b32 s13, s11
	s_cbranch_execz .LBB21_68
; %bb.63:
	v_add_co_u32 v21, s12, s40, v43
	s_delay_alu instid0(VALU_DEP_1) | instskip(SKIP_1) | instid1(VALU_DEP_2)
	v_add_co_ci_u32_e64 v22, null, s41, 0, s12
	v_mov_b32_e32 v19, 0
	v_or_b32_e32 v20, s39, v22
	s_delay_alu instid0(VALU_DEP_1) | instskip(SKIP_1) | instid1(SALU_CYCLE_1)
	v_cmp_ne_u64_e32 vcc_lo, 0, v[19:20]
                                        ; implicit-def: $vgpr19_vgpr20
	s_and_saveexec_b32 s12, vcc_lo
	s_xor_b32 s14, exec_lo, s12
	s_cbranch_execz .LBB21_65
; %bb.64:
	v_cvt_f32_u32_e32 v19, s38
	v_cvt_f32_u32_e32 v20, s39
	s_sub_u32 s12, 0, s38
	s_subb_u32 s15, 0, s39
	s_delay_alu instid0(VALU_DEP_1) | instskip(NEXT) | instid1(VALU_DEP_1)
	v_fmamk_f32 v19, v20, 0x4f800000, v19
	v_rcp_f32_e32 v19, v19
	s_waitcnt_depctr 0xfff
	v_mul_f32_e32 v19, 0x5f7ffffc, v19
	s_delay_alu instid0(VALU_DEP_1) | instskip(NEXT) | instid1(VALU_DEP_1)
	v_mul_f32_e32 v20, 0x2f800000, v19
	v_trunc_f32_e32 v20, v20
	s_delay_alu instid0(VALU_DEP_1) | instskip(SKIP_1) | instid1(VALU_DEP_2)
	v_fmamk_f32 v19, v20, 0xcf800000, v19
	v_cvt_u32_f32_e32 v20, v20
	v_cvt_u32_f32_e32 v19, v19
	s_delay_alu instid0(VALU_DEP_2) | instskip(NEXT) | instid1(VALU_DEP_2)
	v_mul_lo_u32 v23, s12, v20
	v_mul_hi_u32 v24, s12, v19
	v_mul_lo_u32 v25, s15, v19
	s_delay_alu instid0(VALU_DEP_2) | instskip(SKIP_1) | instid1(VALU_DEP_2)
	v_add_nc_u32_e32 v23, v24, v23
	v_mul_lo_u32 v24, s12, v19
	v_add_nc_u32_e32 v23, v23, v25
	s_delay_alu instid0(VALU_DEP_2) | instskip(NEXT) | instid1(VALU_DEP_2)
	v_mul_hi_u32 v25, v19, v24
	v_mul_lo_u32 v26, v19, v23
	v_mul_hi_u32 v27, v19, v23
	v_mul_hi_u32 v28, v20, v24
	v_mul_lo_u32 v24, v20, v24
	v_mul_hi_u32 v29, v20, v23
	v_mul_lo_u32 v23, v20, v23
	v_add_co_u32 v25, vcc_lo, v25, v26
	v_add_co_ci_u32_e32 v26, vcc_lo, 0, v27, vcc_lo
	s_delay_alu instid0(VALU_DEP_2) | instskip(NEXT) | instid1(VALU_DEP_2)
	v_add_co_u32 v24, vcc_lo, v25, v24
	v_add_co_ci_u32_e32 v24, vcc_lo, v26, v28, vcc_lo
	v_add_co_ci_u32_e32 v25, vcc_lo, 0, v29, vcc_lo
	s_delay_alu instid0(VALU_DEP_2) | instskip(NEXT) | instid1(VALU_DEP_2)
	v_add_co_u32 v23, vcc_lo, v24, v23
	v_add_co_ci_u32_e32 v24, vcc_lo, 0, v25, vcc_lo
	s_delay_alu instid0(VALU_DEP_2) | instskip(NEXT) | instid1(VALU_DEP_2)
	v_add_co_u32 v19, vcc_lo, v19, v23
	v_add_co_ci_u32_e32 v20, vcc_lo, v20, v24, vcc_lo
	s_delay_alu instid0(VALU_DEP_2) | instskip(SKIP_1) | instid1(VALU_DEP_3)
	v_mul_hi_u32 v23, s12, v19
	v_mul_lo_u32 v25, s15, v19
	v_mul_lo_u32 v24, s12, v20
	s_delay_alu instid0(VALU_DEP_1) | instskip(SKIP_1) | instid1(VALU_DEP_2)
	v_add_nc_u32_e32 v23, v23, v24
	v_mul_lo_u32 v24, s12, v19
	v_add_nc_u32_e32 v23, v23, v25
	s_delay_alu instid0(VALU_DEP_2) | instskip(NEXT) | instid1(VALU_DEP_2)
	v_mul_hi_u32 v25, v19, v24
	v_mul_lo_u32 v26, v19, v23
	v_mul_hi_u32 v27, v19, v23
	v_mul_hi_u32 v28, v20, v24
	v_mul_lo_u32 v24, v20, v24
	v_mul_hi_u32 v29, v20, v23
	v_mul_lo_u32 v23, v20, v23
	v_add_co_u32 v25, vcc_lo, v25, v26
	v_add_co_ci_u32_e32 v26, vcc_lo, 0, v27, vcc_lo
	s_delay_alu instid0(VALU_DEP_2) | instskip(NEXT) | instid1(VALU_DEP_2)
	v_add_co_u32 v24, vcc_lo, v25, v24
	v_add_co_ci_u32_e32 v24, vcc_lo, v26, v28, vcc_lo
	v_add_co_ci_u32_e32 v25, vcc_lo, 0, v29, vcc_lo
	s_delay_alu instid0(VALU_DEP_2) | instskip(NEXT) | instid1(VALU_DEP_2)
	v_add_co_u32 v23, vcc_lo, v24, v23
	v_add_co_ci_u32_e32 v24, vcc_lo, 0, v25, vcc_lo
	s_delay_alu instid0(VALU_DEP_2) | instskip(NEXT) | instid1(VALU_DEP_2)
	v_add_co_u32 v25, vcc_lo, v19, v23
	v_add_co_ci_u32_e32 v27, vcc_lo, v20, v24, vcc_lo
	s_delay_alu instid0(VALU_DEP_2) | instskip(SKIP_1) | instid1(VALU_DEP_3)
	v_mul_hi_u32 v28, v21, v25
	v_mad_u64_u32 v[23:24], null, v22, v25, 0
	v_mad_u64_u32 v[19:20], null, v21, v27, 0
	;; [unrolled: 1-line block ×3, first 2 shown]
	s_delay_alu instid0(VALU_DEP_2) | instskip(NEXT) | instid1(VALU_DEP_3)
	v_add_co_u32 v19, vcc_lo, v28, v19
	v_add_co_ci_u32_e32 v20, vcc_lo, 0, v20, vcc_lo
	s_delay_alu instid0(VALU_DEP_2) | instskip(NEXT) | instid1(VALU_DEP_2)
	v_add_co_u32 v19, vcc_lo, v19, v23
	v_add_co_ci_u32_e32 v19, vcc_lo, v20, v24, vcc_lo
	v_add_co_ci_u32_e32 v20, vcc_lo, 0, v26, vcc_lo
	s_delay_alu instid0(VALU_DEP_2) | instskip(NEXT) | instid1(VALU_DEP_2)
	v_add_co_u32 v23, vcc_lo, v19, v25
	v_add_co_ci_u32_e32 v24, vcc_lo, 0, v20, vcc_lo
	s_delay_alu instid0(VALU_DEP_2) | instskip(SKIP_1) | instid1(VALU_DEP_3)
	v_mul_lo_u32 v25, s39, v23
	v_mad_u64_u32 v[19:20], null, s38, v23, 0
	v_mul_lo_u32 v26, s38, v24
	s_delay_alu instid0(VALU_DEP_2) | instskip(NEXT) | instid1(VALU_DEP_2)
	v_sub_co_u32 v19, vcc_lo, v21, v19
	v_add3_u32 v20, v20, v26, v25
	s_delay_alu instid0(VALU_DEP_1) | instskip(NEXT) | instid1(VALU_DEP_1)
	v_sub_nc_u32_e32 v25, v22, v20
	v_subrev_co_ci_u32_e64 v21, s12, s39, v25, vcc_lo
	v_add_co_u32 v25, s12, v23, 2
	s_delay_alu instid0(VALU_DEP_1) | instskip(SKIP_3) | instid1(VALU_DEP_3)
	v_add_co_ci_u32_e64 v26, s12, 0, v24, s12
	v_sub_co_u32 v27, s12, v19, s38
	v_sub_co_ci_u32_e32 v20, vcc_lo, v22, v20, vcc_lo
	v_subrev_co_ci_u32_e64 v21, s12, 0, v21, s12
	v_cmp_le_u32_e32 vcc_lo, s38, v27
	s_delay_alu instid0(VALU_DEP_3) | instskip(SKIP_1) | instid1(VALU_DEP_4)
	v_cmp_eq_u32_e64 s12, s39, v20
	v_cndmask_b32_e64 v22, 0, -1, vcc_lo
	v_cmp_le_u32_e32 vcc_lo, s39, v21
	v_cndmask_b32_e64 v27, 0, -1, vcc_lo
	v_cmp_le_u32_e32 vcc_lo, s38, v19
	;; [unrolled: 2-line block ×3, first 2 shown]
	v_cndmask_b32_e64 v28, 0, -1, vcc_lo
	v_cmp_eq_u32_e32 vcc_lo, s39, v21
	s_delay_alu instid0(VALU_DEP_2) | instskip(SKIP_3) | instid1(VALU_DEP_3)
	v_cndmask_b32_e64 v19, v28, v19, s12
	v_cndmask_b32_e32 v21, v27, v22, vcc_lo
	v_add_co_u32 v22, vcc_lo, v23, 1
	v_add_co_ci_u32_e32 v27, vcc_lo, 0, v24, vcc_lo
	v_cmp_ne_u32_e32 vcc_lo, 0, v21
	s_delay_alu instid0(VALU_DEP_2) | instskip(SKIP_1) | instid1(VALU_DEP_2)
	v_dual_cndmask_b32 v20, v27, v26 :: v_dual_cndmask_b32 v21, v22, v25
	v_cmp_ne_u32_e32 vcc_lo, 0, v19
	v_dual_cndmask_b32 v20, v24, v20 :: v_dual_cndmask_b32 v19, v23, v21
                                        ; implicit-def: $vgpr21
.LBB21_65:
	s_and_not1_saveexec_b32 s12, s14
	s_cbranch_execz .LBB21_67
; %bb.66:
	v_cvt_f32_u32_e32 v19, s38
	s_sub_i32 s14, 0, s38
	s_delay_alu instid0(VALU_DEP_1) | instskip(SKIP_2) | instid1(VALU_DEP_1)
	v_rcp_iflag_f32_e32 v19, v19
	s_waitcnt_depctr 0xfff
	v_mul_f32_e32 v19, 0x4f7ffffe, v19
	v_cvt_u32_f32_e32 v19, v19
	s_delay_alu instid0(VALU_DEP_1) | instskip(NEXT) | instid1(VALU_DEP_1)
	v_mul_lo_u32 v20, s14, v19
	v_mul_hi_u32 v20, v19, v20
	s_delay_alu instid0(VALU_DEP_1) | instskip(NEXT) | instid1(VALU_DEP_1)
	v_add_nc_u32_e32 v19, v19, v20
	v_mul_hi_u32 v19, v21, v19
	s_delay_alu instid0(VALU_DEP_1) | instskip(NEXT) | instid1(VALU_DEP_1)
	v_mul_lo_u32 v20, v19, s38
	v_sub_nc_u32_e32 v20, v21, v20
	v_add_nc_u32_e32 v21, 1, v19
	s_delay_alu instid0(VALU_DEP_2) | instskip(SKIP_1) | instid1(VALU_DEP_2)
	v_subrev_nc_u32_e32 v22, s38, v20
	v_cmp_le_u32_e32 vcc_lo, s38, v20
	v_dual_cndmask_b32 v20, v20, v22 :: v_dual_cndmask_b32 v19, v19, v21
	s_delay_alu instid0(VALU_DEP_1) | instskip(NEXT) | instid1(VALU_DEP_2)
	v_cmp_le_u32_e32 vcc_lo, s38, v20
	v_dual_mov_b32 v20, 0 :: v_dual_add_nc_u32 v21, 1, v19
	s_delay_alu instid0(VALU_DEP_1)
	v_cndmask_b32_e32 v19, v19, v21, vcc_lo
.LBB21_67:
	s_or_b32 exec_lo, exec_lo, s12
.LBB21_68:
	s_delay_alu instid0(SALU_CYCLE_1) | instskip(SKIP_2) | instid1(VALU_DEP_2)
	s_or_b32 exec_lo, exec_lo, s13
	v_or_b32_e32 v44, 0xa00, v0
	v_dual_mov_b32 v21, v33 :: v_dual_mov_b32 v22, v34
	v_cmp_gt_u32_e64 s12, s52, v44
	s_delay_alu instid0(VALU_DEP_1)
	s_and_saveexec_b32 s14, s12
	s_cbranch_execz .LBB21_74
; %bb.69:
	v_add_co_u32 v23, s13, s40, v44
	s_delay_alu instid0(VALU_DEP_1) | instskip(SKIP_1) | instid1(VALU_DEP_2)
	v_add_co_ci_u32_e64 v24, null, s41, 0, s13
	v_mov_b32_e32 v21, 0
	v_or_b32_e32 v22, s39, v24
	s_delay_alu instid0(VALU_DEP_1) | instskip(SKIP_1) | instid1(SALU_CYCLE_1)
	v_cmp_ne_u64_e32 vcc_lo, 0, v[21:22]
                                        ; implicit-def: $vgpr21_vgpr22
	s_and_saveexec_b32 s13, vcc_lo
	s_xor_b32 s15, exec_lo, s13
	s_cbranch_execz .LBB21_71
; %bb.70:
	v_cvt_f32_u32_e32 v21, s38
	v_cvt_f32_u32_e32 v22, s39
	s_sub_u32 s13, 0, s38
	s_subb_u32 s16, 0, s39
	s_delay_alu instid0(VALU_DEP_1) | instskip(NEXT) | instid1(VALU_DEP_1)
	v_fmamk_f32 v21, v22, 0x4f800000, v21
	v_rcp_f32_e32 v21, v21
	s_waitcnt_depctr 0xfff
	v_mul_f32_e32 v21, 0x5f7ffffc, v21
	s_delay_alu instid0(VALU_DEP_1) | instskip(NEXT) | instid1(VALU_DEP_1)
	v_mul_f32_e32 v22, 0x2f800000, v21
	v_trunc_f32_e32 v22, v22
	s_delay_alu instid0(VALU_DEP_1) | instskip(SKIP_1) | instid1(VALU_DEP_2)
	v_fmamk_f32 v21, v22, 0xcf800000, v21
	v_cvt_u32_f32_e32 v22, v22
	v_cvt_u32_f32_e32 v21, v21
	s_delay_alu instid0(VALU_DEP_2) | instskip(NEXT) | instid1(VALU_DEP_2)
	v_mul_lo_u32 v25, s13, v22
	v_mul_hi_u32 v26, s13, v21
	v_mul_lo_u32 v27, s16, v21
	s_delay_alu instid0(VALU_DEP_2) | instskip(SKIP_1) | instid1(VALU_DEP_2)
	v_add_nc_u32_e32 v25, v26, v25
	v_mul_lo_u32 v26, s13, v21
	v_add_nc_u32_e32 v25, v25, v27
	s_delay_alu instid0(VALU_DEP_2) | instskip(NEXT) | instid1(VALU_DEP_2)
	v_mul_hi_u32 v27, v21, v26
	v_mul_lo_u32 v28, v21, v25
	v_mul_hi_u32 v29, v21, v25
	v_mul_hi_u32 v30, v22, v26
	v_mul_lo_u32 v26, v22, v26
	v_mul_hi_u32 v31, v22, v25
	v_mul_lo_u32 v25, v22, v25
	v_add_co_u32 v27, vcc_lo, v27, v28
	v_add_co_ci_u32_e32 v28, vcc_lo, 0, v29, vcc_lo
	s_delay_alu instid0(VALU_DEP_2) | instskip(NEXT) | instid1(VALU_DEP_2)
	v_add_co_u32 v26, vcc_lo, v27, v26
	v_add_co_ci_u32_e32 v26, vcc_lo, v28, v30, vcc_lo
	v_add_co_ci_u32_e32 v27, vcc_lo, 0, v31, vcc_lo
	s_delay_alu instid0(VALU_DEP_2) | instskip(NEXT) | instid1(VALU_DEP_2)
	v_add_co_u32 v25, vcc_lo, v26, v25
	v_add_co_ci_u32_e32 v26, vcc_lo, 0, v27, vcc_lo
	s_delay_alu instid0(VALU_DEP_2) | instskip(NEXT) | instid1(VALU_DEP_2)
	v_add_co_u32 v21, vcc_lo, v21, v25
	v_add_co_ci_u32_e32 v22, vcc_lo, v22, v26, vcc_lo
	s_delay_alu instid0(VALU_DEP_2) | instskip(SKIP_1) | instid1(VALU_DEP_3)
	v_mul_hi_u32 v25, s13, v21
	v_mul_lo_u32 v27, s16, v21
	v_mul_lo_u32 v26, s13, v22
	s_delay_alu instid0(VALU_DEP_1) | instskip(SKIP_1) | instid1(VALU_DEP_2)
	v_add_nc_u32_e32 v25, v25, v26
	v_mul_lo_u32 v26, s13, v21
	v_add_nc_u32_e32 v25, v25, v27
	s_delay_alu instid0(VALU_DEP_2) | instskip(NEXT) | instid1(VALU_DEP_2)
	v_mul_hi_u32 v27, v21, v26
	v_mul_lo_u32 v28, v21, v25
	v_mul_hi_u32 v29, v21, v25
	v_mul_hi_u32 v30, v22, v26
	v_mul_lo_u32 v26, v22, v26
	v_mul_hi_u32 v31, v22, v25
	v_mul_lo_u32 v25, v22, v25
	v_add_co_u32 v27, vcc_lo, v27, v28
	v_add_co_ci_u32_e32 v28, vcc_lo, 0, v29, vcc_lo
	s_delay_alu instid0(VALU_DEP_2) | instskip(NEXT) | instid1(VALU_DEP_2)
	v_add_co_u32 v26, vcc_lo, v27, v26
	v_add_co_ci_u32_e32 v26, vcc_lo, v28, v30, vcc_lo
	v_add_co_ci_u32_e32 v27, vcc_lo, 0, v31, vcc_lo
	s_delay_alu instid0(VALU_DEP_2) | instskip(NEXT) | instid1(VALU_DEP_2)
	v_add_co_u32 v25, vcc_lo, v26, v25
	v_add_co_ci_u32_e32 v26, vcc_lo, 0, v27, vcc_lo
	s_delay_alu instid0(VALU_DEP_2) | instskip(NEXT) | instid1(VALU_DEP_2)
	v_add_co_u32 v27, vcc_lo, v21, v25
	v_add_co_ci_u32_e32 v29, vcc_lo, v22, v26, vcc_lo
	s_delay_alu instid0(VALU_DEP_2) | instskip(SKIP_1) | instid1(VALU_DEP_3)
	v_mul_hi_u32 v30, v23, v27
	v_mad_u64_u32 v[25:26], null, v24, v27, 0
	v_mad_u64_u32 v[21:22], null, v23, v29, 0
	;; [unrolled: 1-line block ×3, first 2 shown]
	s_delay_alu instid0(VALU_DEP_2) | instskip(NEXT) | instid1(VALU_DEP_3)
	v_add_co_u32 v21, vcc_lo, v30, v21
	v_add_co_ci_u32_e32 v22, vcc_lo, 0, v22, vcc_lo
	s_delay_alu instid0(VALU_DEP_2) | instskip(NEXT) | instid1(VALU_DEP_2)
	v_add_co_u32 v21, vcc_lo, v21, v25
	v_add_co_ci_u32_e32 v21, vcc_lo, v22, v26, vcc_lo
	v_add_co_ci_u32_e32 v22, vcc_lo, 0, v28, vcc_lo
	s_delay_alu instid0(VALU_DEP_2) | instskip(NEXT) | instid1(VALU_DEP_2)
	v_add_co_u32 v25, vcc_lo, v21, v27
	v_add_co_ci_u32_e32 v26, vcc_lo, 0, v22, vcc_lo
	s_delay_alu instid0(VALU_DEP_2) | instskip(SKIP_1) | instid1(VALU_DEP_3)
	v_mul_lo_u32 v27, s39, v25
	v_mad_u64_u32 v[21:22], null, s38, v25, 0
	v_mul_lo_u32 v28, s38, v26
	s_delay_alu instid0(VALU_DEP_2) | instskip(NEXT) | instid1(VALU_DEP_2)
	v_sub_co_u32 v21, vcc_lo, v23, v21
	v_add3_u32 v22, v22, v28, v27
	s_delay_alu instid0(VALU_DEP_1) | instskip(NEXT) | instid1(VALU_DEP_1)
	v_sub_nc_u32_e32 v27, v24, v22
	v_subrev_co_ci_u32_e64 v23, s13, s39, v27, vcc_lo
	v_add_co_u32 v27, s13, v25, 2
	s_delay_alu instid0(VALU_DEP_1) | instskip(SKIP_3) | instid1(VALU_DEP_3)
	v_add_co_ci_u32_e64 v28, s13, 0, v26, s13
	v_sub_co_u32 v29, s13, v21, s38
	v_sub_co_ci_u32_e32 v22, vcc_lo, v24, v22, vcc_lo
	v_subrev_co_ci_u32_e64 v23, s13, 0, v23, s13
	v_cmp_le_u32_e32 vcc_lo, s38, v29
	s_delay_alu instid0(VALU_DEP_3) | instskip(SKIP_1) | instid1(VALU_DEP_4)
	v_cmp_eq_u32_e64 s13, s39, v22
	v_cndmask_b32_e64 v24, 0, -1, vcc_lo
	v_cmp_le_u32_e32 vcc_lo, s39, v23
	v_cndmask_b32_e64 v29, 0, -1, vcc_lo
	v_cmp_le_u32_e32 vcc_lo, s38, v21
	;; [unrolled: 2-line block ×3, first 2 shown]
	v_cndmask_b32_e64 v30, 0, -1, vcc_lo
	v_cmp_eq_u32_e32 vcc_lo, s39, v23
	s_delay_alu instid0(VALU_DEP_2) | instskip(SKIP_3) | instid1(VALU_DEP_3)
	v_cndmask_b32_e64 v21, v30, v21, s13
	v_cndmask_b32_e32 v23, v29, v24, vcc_lo
	v_add_co_u32 v24, vcc_lo, v25, 1
	v_add_co_ci_u32_e32 v29, vcc_lo, 0, v26, vcc_lo
	v_cmp_ne_u32_e32 vcc_lo, 0, v23
	s_delay_alu instid0(VALU_DEP_2) | instskip(SKIP_1) | instid1(VALU_DEP_2)
	v_dual_cndmask_b32 v22, v29, v28 :: v_dual_cndmask_b32 v23, v24, v27
	v_cmp_ne_u32_e32 vcc_lo, 0, v21
	v_dual_cndmask_b32 v22, v26, v22 :: v_dual_cndmask_b32 v21, v25, v23
                                        ; implicit-def: $vgpr23
.LBB21_71:
	s_and_not1_saveexec_b32 s13, s15
	s_cbranch_execz .LBB21_73
; %bb.72:
	v_cvt_f32_u32_e32 v21, s38
	s_sub_i32 s15, 0, s38
	s_delay_alu instid0(VALU_DEP_1) | instskip(SKIP_2) | instid1(VALU_DEP_1)
	v_rcp_iflag_f32_e32 v21, v21
	s_waitcnt_depctr 0xfff
	v_mul_f32_e32 v21, 0x4f7ffffe, v21
	v_cvt_u32_f32_e32 v21, v21
	s_delay_alu instid0(VALU_DEP_1) | instskip(NEXT) | instid1(VALU_DEP_1)
	v_mul_lo_u32 v22, s15, v21
	v_mul_hi_u32 v22, v21, v22
	s_delay_alu instid0(VALU_DEP_1) | instskip(NEXT) | instid1(VALU_DEP_1)
	v_add_nc_u32_e32 v21, v21, v22
	v_mul_hi_u32 v21, v23, v21
	s_delay_alu instid0(VALU_DEP_1) | instskip(NEXT) | instid1(VALU_DEP_1)
	v_mul_lo_u32 v22, v21, s38
	v_sub_nc_u32_e32 v22, v23, v22
	v_add_nc_u32_e32 v23, 1, v21
	s_delay_alu instid0(VALU_DEP_2) | instskip(SKIP_1) | instid1(VALU_DEP_2)
	v_subrev_nc_u32_e32 v24, s38, v22
	v_cmp_le_u32_e32 vcc_lo, s38, v22
	v_dual_cndmask_b32 v22, v22, v24 :: v_dual_cndmask_b32 v21, v21, v23
	s_delay_alu instid0(VALU_DEP_1) | instskip(NEXT) | instid1(VALU_DEP_2)
	v_cmp_le_u32_e32 vcc_lo, s38, v22
	v_dual_mov_b32 v22, 0 :: v_dual_add_nc_u32 v23, 1, v21
	s_delay_alu instid0(VALU_DEP_1)
	v_cndmask_b32_e32 v21, v21, v23, vcc_lo
.LBB21_73:
	s_or_b32 exec_lo, exec_lo, s13
.LBB21_74:
	s_delay_alu instid0(SALU_CYCLE_1) | instskip(SKIP_2) | instid1(VALU_DEP_2)
	s_or_b32 exec_lo, exec_lo, s14
	v_or_b32_e32 v45, 0xb00, v0
	v_dual_mov_b32 v23, v33 :: v_dual_mov_b32 v24, v34
	v_cmp_gt_u32_e64 s13, s52, v45
	s_delay_alu instid0(VALU_DEP_1)
	s_and_saveexec_b32 s15, s13
	s_cbranch_execz .LBB21_80
; %bb.75:
	v_add_co_u32 v25, s14, s40, v45
	s_delay_alu instid0(VALU_DEP_1) | instskip(SKIP_1) | instid1(VALU_DEP_2)
	v_add_co_ci_u32_e64 v26, null, s41, 0, s14
	v_mov_b32_e32 v23, 0
	v_or_b32_e32 v24, s39, v26
	s_delay_alu instid0(VALU_DEP_1) | instskip(SKIP_1) | instid1(SALU_CYCLE_1)
	v_cmp_ne_u64_e32 vcc_lo, 0, v[23:24]
                                        ; implicit-def: $vgpr23_vgpr24
	s_and_saveexec_b32 s14, vcc_lo
	s_xor_b32 s16, exec_lo, s14
	s_cbranch_execz .LBB21_77
; %bb.76:
	v_cvt_f32_u32_e32 v23, s38
	v_cvt_f32_u32_e32 v24, s39
	s_sub_u32 s14, 0, s38
	s_subb_u32 s17, 0, s39
	s_delay_alu instid0(VALU_DEP_1) | instskip(NEXT) | instid1(VALU_DEP_1)
	v_fmamk_f32 v23, v24, 0x4f800000, v23
	v_rcp_f32_e32 v23, v23
	s_waitcnt_depctr 0xfff
	v_mul_f32_e32 v23, 0x5f7ffffc, v23
	s_delay_alu instid0(VALU_DEP_1) | instskip(NEXT) | instid1(VALU_DEP_1)
	v_mul_f32_e32 v24, 0x2f800000, v23
	v_trunc_f32_e32 v24, v24
	s_delay_alu instid0(VALU_DEP_1) | instskip(SKIP_1) | instid1(VALU_DEP_2)
	v_fmamk_f32 v23, v24, 0xcf800000, v23
	v_cvt_u32_f32_e32 v24, v24
	v_cvt_u32_f32_e32 v23, v23
	s_delay_alu instid0(VALU_DEP_2) | instskip(NEXT) | instid1(VALU_DEP_2)
	v_mul_lo_u32 v27, s14, v24
	v_mul_hi_u32 v28, s14, v23
	v_mul_lo_u32 v29, s17, v23
	s_delay_alu instid0(VALU_DEP_2) | instskip(SKIP_1) | instid1(VALU_DEP_2)
	v_add_nc_u32_e32 v27, v28, v27
	v_mul_lo_u32 v28, s14, v23
	v_add_nc_u32_e32 v27, v27, v29
	s_delay_alu instid0(VALU_DEP_2) | instskip(NEXT) | instid1(VALU_DEP_2)
	v_mul_hi_u32 v29, v23, v28
	v_mul_lo_u32 v30, v23, v27
	v_mul_hi_u32 v31, v23, v27
	v_mul_hi_u32 v32, v24, v28
	v_mul_lo_u32 v28, v24, v28
	v_mul_hi_u32 v46, v24, v27
	v_mul_lo_u32 v27, v24, v27
	v_add_co_u32 v29, vcc_lo, v29, v30
	v_add_co_ci_u32_e32 v30, vcc_lo, 0, v31, vcc_lo
	s_delay_alu instid0(VALU_DEP_2) | instskip(NEXT) | instid1(VALU_DEP_2)
	v_add_co_u32 v28, vcc_lo, v29, v28
	v_add_co_ci_u32_e32 v28, vcc_lo, v30, v32, vcc_lo
	v_add_co_ci_u32_e32 v29, vcc_lo, 0, v46, vcc_lo
	s_delay_alu instid0(VALU_DEP_2) | instskip(NEXT) | instid1(VALU_DEP_2)
	v_add_co_u32 v27, vcc_lo, v28, v27
	v_add_co_ci_u32_e32 v28, vcc_lo, 0, v29, vcc_lo
	s_delay_alu instid0(VALU_DEP_2) | instskip(NEXT) | instid1(VALU_DEP_2)
	v_add_co_u32 v23, vcc_lo, v23, v27
	v_add_co_ci_u32_e32 v24, vcc_lo, v24, v28, vcc_lo
	s_delay_alu instid0(VALU_DEP_2) | instskip(SKIP_1) | instid1(VALU_DEP_3)
	v_mul_hi_u32 v27, s14, v23
	v_mul_lo_u32 v29, s17, v23
	v_mul_lo_u32 v28, s14, v24
	s_delay_alu instid0(VALU_DEP_1) | instskip(SKIP_1) | instid1(VALU_DEP_2)
	v_add_nc_u32_e32 v27, v27, v28
	v_mul_lo_u32 v28, s14, v23
	v_add_nc_u32_e32 v27, v27, v29
	s_delay_alu instid0(VALU_DEP_2) | instskip(NEXT) | instid1(VALU_DEP_2)
	v_mul_hi_u32 v29, v23, v28
	v_mul_lo_u32 v30, v23, v27
	v_mul_hi_u32 v31, v23, v27
	v_mul_hi_u32 v32, v24, v28
	v_mul_lo_u32 v28, v24, v28
	v_mul_hi_u32 v46, v24, v27
	v_mul_lo_u32 v27, v24, v27
	v_add_co_u32 v29, vcc_lo, v29, v30
	v_add_co_ci_u32_e32 v30, vcc_lo, 0, v31, vcc_lo
	s_delay_alu instid0(VALU_DEP_2) | instskip(NEXT) | instid1(VALU_DEP_2)
	v_add_co_u32 v28, vcc_lo, v29, v28
	v_add_co_ci_u32_e32 v28, vcc_lo, v30, v32, vcc_lo
	v_add_co_ci_u32_e32 v29, vcc_lo, 0, v46, vcc_lo
	s_delay_alu instid0(VALU_DEP_2) | instskip(NEXT) | instid1(VALU_DEP_2)
	v_add_co_u32 v27, vcc_lo, v28, v27
	v_add_co_ci_u32_e32 v28, vcc_lo, 0, v29, vcc_lo
	s_delay_alu instid0(VALU_DEP_2) | instskip(NEXT) | instid1(VALU_DEP_2)
	v_add_co_u32 v29, vcc_lo, v23, v27
	v_add_co_ci_u32_e32 v31, vcc_lo, v24, v28, vcc_lo
	s_delay_alu instid0(VALU_DEP_2) | instskip(SKIP_1) | instid1(VALU_DEP_3)
	v_mul_hi_u32 v32, v25, v29
	v_mad_u64_u32 v[27:28], null, v26, v29, 0
	v_mad_u64_u32 v[23:24], null, v25, v31, 0
	;; [unrolled: 1-line block ×3, first 2 shown]
	s_delay_alu instid0(VALU_DEP_2) | instskip(NEXT) | instid1(VALU_DEP_3)
	v_add_co_u32 v23, vcc_lo, v32, v23
	v_add_co_ci_u32_e32 v24, vcc_lo, 0, v24, vcc_lo
	s_delay_alu instid0(VALU_DEP_2) | instskip(NEXT) | instid1(VALU_DEP_2)
	v_add_co_u32 v23, vcc_lo, v23, v27
	v_add_co_ci_u32_e32 v23, vcc_lo, v24, v28, vcc_lo
	v_add_co_ci_u32_e32 v24, vcc_lo, 0, v30, vcc_lo
	s_delay_alu instid0(VALU_DEP_2) | instskip(NEXT) | instid1(VALU_DEP_2)
	v_add_co_u32 v27, vcc_lo, v23, v29
	v_add_co_ci_u32_e32 v28, vcc_lo, 0, v24, vcc_lo
	s_delay_alu instid0(VALU_DEP_2) | instskip(SKIP_1) | instid1(VALU_DEP_3)
	v_mul_lo_u32 v29, s39, v27
	v_mad_u64_u32 v[23:24], null, s38, v27, 0
	v_mul_lo_u32 v30, s38, v28
	s_delay_alu instid0(VALU_DEP_2) | instskip(NEXT) | instid1(VALU_DEP_2)
	v_sub_co_u32 v23, vcc_lo, v25, v23
	v_add3_u32 v24, v24, v30, v29
	s_delay_alu instid0(VALU_DEP_1) | instskip(NEXT) | instid1(VALU_DEP_1)
	v_sub_nc_u32_e32 v29, v26, v24
	v_subrev_co_ci_u32_e64 v25, s14, s39, v29, vcc_lo
	v_add_co_u32 v29, s14, v27, 2
	s_delay_alu instid0(VALU_DEP_1) | instskip(SKIP_3) | instid1(VALU_DEP_3)
	v_add_co_ci_u32_e64 v30, s14, 0, v28, s14
	v_sub_co_u32 v31, s14, v23, s38
	v_sub_co_ci_u32_e32 v24, vcc_lo, v26, v24, vcc_lo
	v_subrev_co_ci_u32_e64 v25, s14, 0, v25, s14
	v_cmp_le_u32_e32 vcc_lo, s38, v31
	s_delay_alu instid0(VALU_DEP_3) | instskip(SKIP_1) | instid1(VALU_DEP_4)
	v_cmp_eq_u32_e64 s14, s39, v24
	v_cndmask_b32_e64 v26, 0, -1, vcc_lo
	v_cmp_le_u32_e32 vcc_lo, s39, v25
	v_cndmask_b32_e64 v31, 0, -1, vcc_lo
	v_cmp_le_u32_e32 vcc_lo, s38, v23
	;; [unrolled: 2-line block ×3, first 2 shown]
	v_cndmask_b32_e64 v32, 0, -1, vcc_lo
	v_cmp_eq_u32_e32 vcc_lo, s39, v25
	s_delay_alu instid0(VALU_DEP_2) | instskip(SKIP_3) | instid1(VALU_DEP_3)
	v_cndmask_b32_e64 v23, v32, v23, s14
	v_cndmask_b32_e32 v25, v31, v26, vcc_lo
	v_add_co_u32 v26, vcc_lo, v27, 1
	v_add_co_ci_u32_e32 v31, vcc_lo, 0, v28, vcc_lo
	v_cmp_ne_u32_e32 vcc_lo, 0, v25
	s_delay_alu instid0(VALU_DEP_2) | instskip(SKIP_1) | instid1(VALU_DEP_2)
	v_dual_cndmask_b32 v24, v31, v30 :: v_dual_cndmask_b32 v25, v26, v29
	v_cmp_ne_u32_e32 vcc_lo, 0, v23
	v_dual_cndmask_b32 v24, v28, v24 :: v_dual_cndmask_b32 v23, v27, v25
                                        ; implicit-def: $vgpr25
.LBB21_77:
	s_and_not1_saveexec_b32 s14, s16
	s_cbranch_execz .LBB21_79
; %bb.78:
	v_cvt_f32_u32_e32 v23, s38
	s_sub_i32 s16, 0, s38
	s_delay_alu instid0(VALU_DEP_1) | instskip(SKIP_2) | instid1(VALU_DEP_1)
	v_rcp_iflag_f32_e32 v23, v23
	s_waitcnt_depctr 0xfff
	v_mul_f32_e32 v23, 0x4f7ffffe, v23
	v_cvt_u32_f32_e32 v23, v23
	s_delay_alu instid0(VALU_DEP_1) | instskip(NEXT) | instid1(VALU_DEP_1)
	v_mul_lo_u32 v24, s16, v23
	v_mul_hi_u32 v24, v23, v24
	s_delay_alu instid0(VALU_DEP_1) | instskip(NEXT) | instid1(VALU_DEP_1)
	v_add_nc_u32_e32 v23, v23, v24
	v_mul_hi_u32 v23, v25, v23
	s_delay_alu instid0(VALU_DEP_1) | instskip(NEXT) | instid1(VALU_DEP_1)
	v_mul_lo_u32 v24, v23, s38
	v_sub_nc_u32_e32 v24, v25, v24
	v_add_nc_u32_e32 v25, 1, v23
	s_delay_alu instid0(VALU_DEP_2) | instskip(SKIP_1) | instid1(VALU_DEP_2)
	v_subrev_nc_u32_e32 v26, s38, v24
	v_cmp_le_u32_e32 vcc_lo, s38, v24
	v_dual_cndmask_b32 v24, v24, v26 :: v_dual_cndmask_b32 v23, v23, v25
	s_delay_alu instid0(VALU_DEP_1) | instskip(NEXT) | instid1(VALU_DEP_2)
	v_cmp_le_u32_e32 vcc_lo, s38, v24
	v_dual_mov_b32 v24, 0 :: v_dual_add_nc_u32 v25, 1, v23
	s_delay_alu instid0(VALU_DEP_1)
	v_cndmask_b32_e32 v23, v23, v25, vcc_lo
.LBB21_79:
	s_or_b32 exec_lo, exec_lo, s14
.LBB21_80:
	s_delay_alu instid0(SALU_CYCLE_1) | instskip(SKIP_2) | instid1(VALU_DEP_2)
	s_or_b32 exec_lo, exec_lo, s15
	v_or_b32_e32 v46, 0xc00, v0
	v_dual_mov_b32 v25, v33 :: v_dual_mov_b32 v26, v34
	v_cmp_gt_u32_e64 s14, s52, v46
	s_delay_alu instid0(VALU_DEP_1)
	s_and_saveexec_b32 s16, s14
	s_cbranch_execz .LBB21_86
; %bb.81:
	v_add_co_u32 v27, s15, s40, v46
	s_delay_alu instid0(VALU_DEP_1) | instskip(SKIP_1) | instid1(VALU_DEP_2)
	v_add_co_ci_u32_e64 v28, null, s41, 0, s15
	v_mov_b32_e32 v25, 0
	v_or_b32_e32 v26, s39, v28
	s_delay_alu instid0(VALU_DEP_1) | instskip(SKIP_1) | instid1(SALU_CYCLE_1)
	v_cmp_ne_u64_e32 vcc_lo, 0, v[25:26]
                                        ; implicit-def: $vgpr25_vgpr26
	s_and_saveexec_b32 s15, vcc_lo
	s_xor_b32 s17, exec_lo, s15
	s_cbranch_execz .LBB21_83
; %bb.82:
	v_cvt_f32_u32_e32 v25, s38
	v_cvt_f32_u32_e32 v26, s39
	s_sub_u32 s15, 0, s38
	s_subb_u32 s18, 0, s39
	s_delay_alu instid0(VALU_DEP_1) | instskip(NEXT) | instid1(VALU_DEP_1)
	v_fmamk_f32 v25, v26, 0x4f800000, v25
	v_rcp_f32_e32 v25, v25
	s_waitcnt_depctr 0xfff
	v_mul_f32_e32 v25, 0x5f7ffffc, v25
	s_delay_alu instid0(VALU_DEP_1) | instskip(NEXT) | instid1(VALU_DEP_1)
	v_mul_f32_e32 v26, 0x2f800000, v25
	v_trunc_f32_e32 v26, v26
	s_delay_alu instid0(VALU_DEP_1) | instskip(SKIP_1) | instid1(VALU_DEP_2)
	v_fmamk_f32 v25, v26, 0xcf800000, v25
	v_cvt_u32_f32_e32 v26, v26
	v_cvt_u32_f32_e32 v25, v25
	s_delay_alu instid0(VALU_DEP_2) | instskip(NEXT) | instid1(VALU_DEP_2)
	v_mul_lo_u32 v29, s15, v26
	v_mul_hi_u32 v30, s15, v25
	v_mul_lo_u32 v31, s18, v25
	s_delay_alu instid0(VALU_DEP_2) | instskip(SKIP_1) | instid1(VALU_DEP_2)
	v_add_nc_u32_e32 v29, v30, v29
	v_mul_lo_u32 v30, s15, v25
	v_add_nc_u32_e32 v29, v29, v31
	s_delay_alu instid0(VALU_DEP_2) | instskip(NEXT) | instid1(VALU_DEP_2)
	v_mul_hi_u32 v31, v25, v30
	v_mul_lo_u32 v32, v25, v29
	v_mul_hi_u32 v47, v25, v29
	v_mul_hi_u32 v48, v26, v30
	v_mul_lo_u32 v30, v26, v30
	v_mul_hi_u32 v49, v26, v29
	v_mul_lo_u32 v29, v26, v29
	v_add_co_u32 v31, vcc_lo, v31, v32
	v_add_co_ci_u32_e32 v32, vcc_lo, 0, v47, vcc_lo
	s_delay_alu instid0(VALU_DEP_2) | instskip(NEXT) | instid1(VALU_DEP_2)
	v_add_co_u32 v30, vcc_lo, v31, v30
	v_add_co_ci_u32_e32 v30, vcc_lo, v32, v48, vcc_lo
	v_add_co_ci_u32_e32 v31, vcc_lo, 0, v49, vcc_lo
	s_delay_alu instid0(VALU_DEP_2) | instskip(NEXT) | instid1(VALU_DEP_2)
	v_add_co_u32 v29, vcc_lo, v30, v29
	v_add_co_ci_u32_e32 v30, vcc_lo, 0, v31, vcc_lo
	s_delay_alu instid0(VALU_DEP_2) | instskip(NEXT) | instid1(VALU_DEP_2)
	v_add_co_u32 v25, vcc_lo, v25, v29
	v_add_co_ci_u32_e32 v26, vcc_lo, v26, v30, vcc_lo
	s_delay_alu instid0(VALU_DEP_2) | instskip(SKIP_1) | instid1(VALU_DEP_3)
	v_mul_hi_u32 v29, s15, v25
	v_mul_lo_u32 v31, s18, v25
	v_mul_lo_u32 v30, s15, v26
	s_delay_alu instid0(VALU_DEP_1) | instskip(SKIP_1) | instid1(VALU_DEP_2)
	v_add_nc_u32_e32 v29, v29, v30
	v_mul_lo_u32 v30, s15, v25
	v_add_nc_u32_e32 v29, v29, v31
	s_delay_alu instid0(VALU_DEP_2) | instskip(NEXT) | instid1(VALU_DEP_2)
	v_mul_hi_u32 v31, v25, v30
	v_mul_lo_u32 v32, v25, v29
	v_mul_hi_u32 v47, v25, v29
	v_mul_hi_u32 v48, v26, v30
	v_mul_lo_u32 v30, v26, v30
	v_mul_hi_u32 v49, v26, v29
	v_mul_lo_u32 v29, v26, v29
	v_add_co_u32 v31, vcc_lo, v31, v32
	v_add_co_ci_u32_e32 v32, vcc_lo, 0, v47, vcc_lo
	s_delay_alu instid0(VALU_DEP_2) | instskip(NEXT) | instid1(VALU_DEP_2)
	v_add_co_u32 v30, vcc_lo, v31, v30
	v_add_co_ci_u32_e32 v30, vcc_lo, v32, v48, vcc_lo
	v_add_co_ci_u32_e32 v31, vcc_lo, 0, v49, vcc_lo
	s_delay_alu instid0(VALU_DEP_2) | instskip(NEXT) | instid1(VALU_DEP_2)
	v_add_co_u32 v29, vcc_lo, v30, v29
	v_add_co_ci_u32_e32 v30, vcc_lo, 0, v31, vcc_lo
	s_delay_alu instid0(VALU_DEP_2) | instskip(NEXT) | instid1(VALU_DEP_2)
	v_add_co_u32 v31, vcc_lo, v25, v29
	v_add_co_ci_u32_e32 v47, vcc_lo, v26, v30, vcc_lo
	s_delay_alu instid0(VALU_DEP_2) | instskip(SKIP_1) | instid1(VALU_DEP_3)
	v_mul_hi_u32 v48, v27, v31
	v_mad_u64_u32 v[29:30], null, v28, v31, 0
	v_mad_u64_u32 v[25:26], null, v27, v47, 0
	;; [unrolled: 1-line block ×3, first 2 shown]
	s_delay_alu instid0(VALU_DEP_2) | instskip(NEXT) | instid1(VALU_DEP_3)
	v_add_co_u32 v25, vcc_lo, v48, v25
	v_add_co_ci_u32_e32 v26, vcc_lo, 0, v26, vcc_lo
	s_delay_alu instid0(VALU_DEP_2) | instskip(NEXT) | instid1(VALU_DEP_2)
	v_add_co_u32 v25, vcc_lo, v25, v29
	v_add_co_ci_u32_e32 v25, vcc_lo, v26, v30, vcc_lo
	v_add_co_ci_u32_e32 v26, vcc_lo, 0, v32, vcc_lo
	s_delay_alu instid0(VALU_DEP_2) | instskip(NEXT) | instid1(VALU_DEP_2)
	v_add_co_u32 v29, vcc_lo, v25, v31
	v_add_co_ci_u32_e32 v30, vcc_lo, 0, v26, vcc_lo
	s_delay_alu instid0(VALU_DEP_2) | instskip(SKIP_1) | instid1(VALU_DEP_3)
	v_mul_lo_u32 v31, s39, v29
	v_mad_u64_u32 v[25:26], null, s38, v29, 0
	v_mul_lo_u32 v32, s38, v30
	s_delay_alu instid0(VALU_DEP_2) | instskip(NEXT) | instid1(VALU_DEP_2)
	v_sub_co_u32 v25, vcc_lo, v27, v25
	v_add3_u32 v26, v26, v32, v31
	s_delay_alu instid0(VALU_DEP_1) | instskip(NEXT) | instid1(VALU_DEP_1)
	v_sub_nc_u32_e32 v31, v28, v26
	v_subrev_co_ci_u32_e64 v27, s15, s39, v31, vcc_lo
	v_add_co_u32 v31, s15, v29, 2
	s_delay_alu instid0(VALU_DEP_1) | instskip(SKIP_3) | instid1(VALU_DEP_3)
	v_add_co_ci_u32_e64 v32, s15, 0, v30, s15
	v_sub_co_u32 v47, s15, v25, s38
	v_sub_co_ci_u32_e32 v26, vcc_lo, v28, v26, vcc_lo
	v_subrev_co_ci_u32_e64 v27, s15, 0, v27, s15
	v_cmp_le_u32_e32 vcc_lo, s38, v47
	s_delay_alu instid0(VALU_DEP_3) | instskip(SKIP_1) | instid1(VALU_DEP_4)
	v_cmp_eq_u32_e64 s15, s39, v26
	v_cndmask_b32_e64 v28, 0, -1, vcc_lo
	v_cmp_le_u32_e32 vcc_lo, s39, v27
	v_cndmask_b32_e64 v47, 0, -1, vcc_lo
	v_cmp_le_u32_e32 vcc_lo, s38, v25
	v_cndmask_b32_e64 v25, 0, -1, vcc_lo
	v_cmp_le_u32_e32 vcc_lo, s39, v26
	v_cndmask_b32_e64 v48, 0, -1, vcc_lo
	v_cmp_eq_u32_e32 vcc_lo, s39, v27
	s_delay_alu instid0(VALU_DEP_2) | instskip(SKIP_3) | instid1(VALU_DEP_3)
	v_cndmask_b32_e64 v25, v48, v25, s15
	v_cndmask_b32_e32 v27, v47, v28, vcc_lo
	v_add_co_u32 v28, vcc_lo, v29, 1
	v_add_co_ci_u32_e32 v47, vcc_lo, 0, v30, vcc_lo
	v_cmp_ne_u32_e32 vcc_lo, 0, v27
	s_delay_alu instid0(VALU_DEP_2) | instskip(SKIP_1) | instid1(VALU_DEP_2)
	v_dual_cndmask_b32 v26, v47, v32 :: v_dual_cndmask_b32 v27, v28, v31
	v_cmp_ne_u32_e32 vcc_lo, 0, v25
	v_dual_cndmask_b32 v26, v30, v26 :: v_dual_cndmask_b32 v25, v29, v27
                                        ; implicit-def: $vgpr27
.LBB21_83:
	s_and_not1_saveexec_b32 s15, s17
	s_cbranch_execz .LBB21_85
; %bb.84:
	v_cvt_f32_u32_e32 v25, s38
	s_sub_i32 s17, 0, s38
	s_delay_alu instid0(VALU_DEP_1) | instskip(SKIP_2) | instid1(VALU_DEP_1)
	v_rcp_iflag_f32_e32 v25, v25
	s_waitcnt_depctr 0xfff
	v_mul_f32_e32 v25, 0x4f7ffffe, v25
	v_cvt_u32_f32_e32 v25, v25
	s_delay_alu instid0(VALU_DEP_1) | instskip(NEXT) | instid1(VALU_DEP_1)
	v_mul_lo_u32 v26, s17, v25
	v_mul_hi_u32 v26, v25, v26
	s_delay_alu instid0(VALU_DEP_1) | instskip(NEXT) | instid1(VALU_DEP_1)
	v_add_nc_u32_e32 v25, v25, v26
	v_mul_hi_u32 v25, v27, v25
	s_delay_alu instid0(VALU_DEP_1) | instskip(NEXT) | instid1(VALU_DEP_1)
	v_mul_lo_u32 v26, v25, s38
	v_sub_nc_u32_e32 v26, v27, v26
	v_add_nc_u32_e32 v27, 1, v25
	s_delay_alu instid0(VALU_DEP_2) | instskip(SKIP_1) | instid1(VALU_DEP_2)
	v_subrev_nc_u32_e32 v28, s38, v26
	v_cmp_le_u32_e32 vcc_lo, s38, v26
	v_dual_cndmask_b32 v26, v26, v28 :: v_dual_cndmask_b32 v25, v25, v27
	s_delay_alu instid0(VALU_DEP_1) | instskip(NEXT) | instid1(VALU_DEP_2)
	v_cmp_le_u32_e32 vcc_lo, s38, v26
	v_dual_mov_b32 v26, 0 :: v_dual_add_nc_u32 v27, 1, v25
	s_delay_alu instid0(VALU_DEP_1)
	v_cndmask_b32_e32 v25, v25, v27, vcc_lo
.LBB21_85:
	s_or_b32 exec_lo, exec_lo, s15
.LBB21_86:
	s_delay_alu instid0(SALU_CYCLE_1) | instskip(SKIP_2) | instid1(VALU_DEP_2)
	s_or_b32 exec_lo, exec_lo, s16
	v_or_b32_e32 v47, 0xd00, v0
	v_dual_mov_b32 v27, v33 :: v_dual_mov_b32 v28, v34
	v_cmp_gt_u32_e64 s15, s52, v47
	s_delay_alu instid0(VALU_DEP_1)
	s_and_saveexec_b32 s17, s15
	s_cbranch_execz .LBB21_92
; %bb.87:
	v_add_co_u32 v29, s16, s40, v47
	s_delay_alu instid0(VALU_DEP_1) | instskip(SKIP_1) | instid1(VALU_DEP_2)
	v_add_co_ci_u32_e64 v30, null, s41, 0, s16
	v_mov_b32_e32 v27, 0
	v_or_b32_e32 v28, s39, v30
	s_delay_alu instid0(VALU_DEP_1) | instskip(SKIP_1) | instid1(SALU_CYCLE_1)
	v_cmp_ne_u64_e32 vcc_lo, 0, v[27:28]
                                        ; implicit-def: $vgpr27_vgpr28
	s_and_saveexec_b32 s16, vcc_lo
	s_xor_b32 s18, exec_lo, s16
	s_cbranch_execz .LBB21_89
; %bb.88:
	v_cvt_f32_u32_e32 v27, s38
	v_cvt_f32_u32_e32 v28, s39
	s_sub_u32 s16, 0, s38
	s_subb_u32 s19, 0, s39
	s_delay_alu instid0(VALU_DEP_1) | instskip(NEXT) | instid1(VALU_DEP_1)
	v_fmamk_f32 v27, v28, 0x4f800000, v27
	v_rcp_f32_e32 v27, v27
	s_waitcnt_depctr 0xfff
	v_mul_f32_e32 v27, 0x5f7ffffc, v27
	s_delay_alu instid0(VALU_DEP_1) | instskip(NEXT) | instid1(VALU_DEP_1)
	v_mul_f32_e32 v28, 0x2f800000, v27
	v_trunc_f32_e32 v28, v28
	s_delay_alu instid0(VALU_DEP_1) | instskip(SKIP_1) | instid1(VALU_DEP_2)
	v_fmamk_f32 v27, v28, 0xcf800000, v27
	v_cvt_u32_f32_e32 v28, v28
	v_cvt_u32_f32_e32 v27, v27
	s_delay_alu instid0(VALU_DEP_2) | instskip(NEXT) | instid1(VALU_DEP_2)
	v_mul_lo_u32 v31, s16, v28
	v_mul_hi_u32 v32, s16, v27
	v_mul_lo_u32 v48, s19, v27
	s_delay_alu instid0(VALU_DEP_2) | instskip(SKIP_1) | instid1(VALU_DEP_2)
	v_add_nc_u32_e32 v31, v32, v31
	v_mul_lo_u32 v32, s16, v27
	v_add_nc_u32_e32 v31, v31, v48
	s_delay_alu instid0(VALU_DEP_2) | instskip(NEXT) | instid1(VALU_DEP_2)
	v_mul_hi_u32 v48, v27, v32
	v_mul_lo_u32 v49, v27, v31
	v_mul_hi_u32 v50, v27, v31
	v_mul_hi_u32 v51, v28, v32
	v_mul_lo_u32 v32, v28, v32
	v_mul_hi_u32 v52, v28, v31
	v_mul_lo_u32 v31, v28, v31
	v_add_co_u32 v48, vcc_lo, v48, v49
	v_add_co_ci_u32_e32 v49, vcc_lo, 0, v50, vcc_lo
	s_delay_alu instid0(VALU_DEP_2) | instskip(NEXT) | instid1(VALU_DEP_2)
	v_add_co_u32 v32, vcc_lo, v48, v32
	v_add_co_ci_u32_e32 v32, vcc_lo, v49, v51, vcc_lo
	v_add_co_ci_u32_e32 v48, vcc_lo, 0, v52, vcc_lo
	s_delay_alu instid0(VALU_DEP_2) | instskip(NEXT) | instid1(VALU_DEP_2)
	v_add_co_u32 v31, vcc_lo, v32, v31
	v_add_co_ci_u32_e32 v32, vcc_lo, 0, v48, vcc_lo
	s_delay_alu instid0(VALU_DEP_2) | instskip(NEXT) | instid1(VALU_DEP_2)
	v_add_co_u32 v27, vcc_lo, v27, v31
	v_add_co_ci_u32_e32 v28, vcc_lo, v28, v32, vcc_lo
	s_delay_alu instid0(VALU_DEP_2) | instskip(SKIP_1) | instid1(VALU_DEP_3)
	v_mul_hi_u32 v31, s16, v27
	v_mul_lo_u32 v48, s19, v27
	v_mul_lo_u32 v32, s16, v28
	s_delay_alu instid0(VALU_DEP_1) | instskip(SKIP_1) | instid1(VALU_DEP_2)
	v_add_nc_u32_e32 v31, v31, v32
	v_mul_lo_u32 v32, s16, v27
	v_add_nc_u32_e32 v31, v31, v48
	s_delay_alu instid0(VALU_DEP_2) | instskip(NEXT) | instid1(VALU_DEP_2)
	v_mul_hi_u32 v48, v27, v32
	v_mul_lo_u32 v49, v27, v31
	v_mul_hi_u32 v50, v27, v31
	v_mul_hi_u32 v51, v28, v32
	v_mul_lo_u32 v32, v28, v32
	v_mul_hi_u32 v52, v28, v31
	v_mul_lo_u32 v31, v28, v31
	v_add_co_u32 v48, vcc_lo, v48, v49
	v_add_co_ci_u32_e32 v49, vcc_lo, 0, v50, vcc_lo
	s_delay_alu instid0(VALU_DEP_2) | instskip(NEXT) | instid1(VALU_DEP_2)
	v_add_co_u32 v32, vcc_lo, v48, v32
	v_add_co_ci_u32_e32 v32, vcc_lo, v49, v51, vcc_lo
	v_add_co_ci_u32_e32 v48, vcc_lo, 0, v52, vcc_lo
	s_delay_alu instid0(VALU_DEP_2) | instskip(NEXT) | instid1(VALU_DEP_2)
	v_add_co_u32 v31, vcc_lo, v32, v31
	v_add_co_ci_u32_e32 v32, vcc_lo, 0, v48, vcc_lo
	s_delay_alu instid0(VALU_DEP_2) | instskip(NEXT) | instid1(VALU_DEP_2)
	v_add_co_u32 v48, vcc_lo, v27, v31
	v_add_co_ci_u32_e32 v50, vcc_lo, v28, v32, vcc_lo
	s_delay_alu instid0(VALU_DEP_2) | instskip(SKIP_1) | instid1(VALU_DEP_3)
	v_mul_hi_u32 v51, v29, v48
	v_mad_u64_u32 v[31:32], null, v30, v48, 0
	v_mad_u64_u32 v[27:28], null, v29, v50, 0
	;; [unrolled: 1-line block ×3, first 2 shown]
	s_delay_alu instid0(VALU_DEP_2) | instskip(NEXT) | instid1(VALU_DEP_3)
	v_add_co_u32 v27, vcc_lo, v51, v27
	v_add_co_ci_u32_e32 v28, vcc_lo, 0, v28, vcc_lo
	s_delay_alu instid0(VALU_DEP_2) | instskip(NEXT) | instid1(VALU_DEP_2)
	v_add_co_u32 v27, vcc_lo, v27, v31
	v_add_co_ci_u32_e32 v27, vcc_lo, v28, v32, vcc_lo
	v_add_co_ci_u32_e32 v28, vcc_lo, 0, v49, vcc_lo
	s_delay_alu instid0(VALU_DEP_2) | instskip(NEXT) | instid1(VALU_DEP_2)
	v_add_co_u32 v31, vcc_lo, v27, v48
	v_add_co_ci_u32_e32 v32, vcc_lo, 0, v28, vcc_lo
	s_delay_alu instid0(VALU_DEP_2) | instskip(SKIP_1) | instid1(VALU_DEP_3)
	v_mul_lo_u32 v48, s39, v31
	v_mad_u64_u32 v[27:28], null, s38, v31, 0
	v_mul_lo_u32 v49, s38, v32
	s_delay_alu instid0(VALU_DEP_2) | instskip(NEXT) | instid1(VALU_DEP_2)
	v_sub_co_u32 v27, vcc_lo, v29, v27
	v_add3_u32 v28, v28, v49, v48
	s_delay_alu instid0(VALU_DEP_1) | instskip(NEXT) | instid1(VALU_DEP_1)
	v_sub_nc_u32_e32 v48, v30, v28
	v_subrev_co_ci_u32_e64 v29, s16, s39, v48, vcc_lo
	v_add_co_u32 v48, s16, v31, 2
	s_delay_alu instid0(VALU_DEP_1) | instskip(SKIP_3) | instid1(VALU_DEP_3)
	v_add_co_ci_u32_e64 v49, s16, 0, v32, s16
	v_sub_co_u32 v50, s16, v27, s38
	v_sub_co_ci_u32_e32 v28, vcc_lo, v30, v28, vcc_lo
	v_subrev_co_ci_u32_e64 v29, s16, 0, v29, s16
	v_cmp_le_u32_e32 vcc_lo, s38, v50
	s_delay_alu instid0(VALU_DEP_3) | instskip(SKIP_1) | instid1(VALU_DEP_4)
	v_cmp_eq_u32_e64 s16, s39, v28
	v_cndmask_b32_e64 v30, 0, -1, vcc_lo
	v_cmp_le_u32_e32 vcc_lo, s39, v29
	v_cndmask_b32_e64 v50, 0, -1, vcc_lo
	v_cmp_le_u32_e32 vcc_lo, s38, v27
	;; [unrolled: 2-line block ×3, first 2 shown]
	v_cndmask_b32_e64 v51, 0, -1, vcc_lo
	v_cmp_eq_u32_e32 vcc_lo, s39, v29
	s_delay_alu instid0(VALU_DEP_2) | instskip(SKIP_3) | instid1(VALU_DEP_3)
	v_cndmask_b32_e64 v27, v51, v27, s16
	v_cndmask_b32_e32 v29, v50, v30, vcc_lo
	v_add_co_u32 v30, vcc_lo, v31, 1
	v_add_co_ci_u32_e32 v50, vcc_lo, 0, v32, vcc_lo
	v_cmp_ne_u32_e32 vcc_lo, 0, v29
	s_delay_alu instid0(VALU_DEP_2) | instskip(NEXT) | instid1(VALU_DEP_4)
	v_cndmask_b32_e32 v28, v50, v49, vcc_lo
	v_cndmask_b32_e32 v29, v30, v48, vcc_lo
	v_cmp_ne_u32_e32 vcc_lo, 0, v27
	s_delay_alu instid0(VALU_DEP_2)
	v_dual_cndmask_b32 v28, v32, v28 :: v_dual_cndmask_b32 v27, v31, v29
                                        ; implicit-def: $vgpr29
.LBB21_89:
	s_and_not1_saveexec_b32 s16, s18
	s_cbranch_execz .LBB21_91
; %bb.90:
	v_cvt_f32_u32_e32 v27, s38
	s_sub_i32 s18, 0, s38
	s_delay_alu instid0(VALU_DEP_1) | instskip(SKIP_2) | instid1(VALU_DEP_1)
	v_rcp_iflag_f32_e32 v27, v27
	s_waitcnt_depctr 0xfff
	v_mul_f32_e32 v27, 0x4f7ffffe, v27
	v_cvt_u32_f32_e32 v27, v27
	s_delay_alu instid0(VALU_DEP_1) | instskip(NEXT) | instid1(VALU_DEP_1)
	v_mul_lo_u32 v28, s18, v27
	v_mul_hi_u32 v28, v27, v28
	s_delay_alu instid0(VALU_DEP_1) | instskip(NEXT) | instid1(VALU_DEP_1)
	v_add_nc_u32_e32 v27, v27, v28
	v_mul_hi_u32 v27, v29, v27
	s_delay_alu instid0(VALU_DEP_1) | instskip(NEXT) | instid1(VALU_DEP_1)
	v_mul_lo_u32 v28, v27, s38
	v_sub_nc_u32_e32 v28, v29, v28
	v_add_nc_u32_e32 v29, 1, v27
	s_delay_alu instid0(VALU_DEP_2) | instskip(SKIP_1) | instid1(VALU_DEP_2)
	v_subrev_nc_u32_e32 v30, s38, v28
	v_cmp_le_u32_e32 vcc_lo, s38, v28
	v_dual_cndmask_b32 v28, v28, v30 :: v_dual_cndmask_b32 v27, v27, v29
	s_delay_alu instid0(VALU_DEP_1) | instskip(NEXT) | instid1(VALU_DEP_2)
	v_cmp_le_u32_e32 vcc_lo, s38, v28
	v_dual_mov_b32 v28, 0 :: v_dual_add_nc_u32 v29, 1, v27
	s_delay_alu instid0(VALU_DEP_1)
	v_cndmask_b32_e32 v27, v27, v29, vcc_lo
.LBB21_91:
	s_or_b32 exec_lo, exec_lo, s16
.LBB21_92:
	s_delay_alu instid0(SALU_CYCLE_1) | instskip(SKIP_2) | instid1(VALU_DEP_2)
	s_or_b32 exec_lo, exec_lo, s17
	v_or_b32_e32 v48, 0xe00, v0
	v_dual_mov_b32 v29, v33 :: v_dual_mov_b32 v30, v34
	v_cmp_gt_u32_e64 s16, s52, v48
	s_delay_alu instid0(VALU_DEP_1)
	s_and_saveexec_b32 s18, s16
	s_cbranch_execz .LBB21_98
; %bb.93:
	v_add_co_u32 v31, s17, s40, v48
	s_delay_alu instid0(VALU_DEP_1) | instskip(SKIP_1) | instid1(VALU_DEP_2)
	v_add_co_ci_u32_e64 v32, null, s41, 0, s17
	v_mov_b32_e32 v29, 0
	v_or_b32_e32 v30, s39, v32
	s_delay_alu instid0(VALU_DEP_1) | instskip(SKIP_1) | instid1(SALU_CYCLE_1)
	v_cmp_ne_u64_e32 vcc_lo, 0, v[29:30]
                                        ; implicit-def: $vgpr29_vgpr30
	s_and_saveexec_b32 s17, vcc_lo
	s_xor_b32 s19, exec_lo, s17
	s_cbranch_execz .LBB21_95
; %bb.94:
	v_cvt_f32_u32_e32 v29, s38
	v_cvt_f32_u32_e32 v30, s39
	s_sub_u32 s17, 0, s38
	s_subb_u32 s46, 0, s39
	s_delay_alu instid0(VALU_DEP_1) | instskip(NEXT) | instid1(VALU_DEP_1)
	v_fmamk_f32 v29, v30, 0x4f800000, v29
	v_rcp_f32_e32 v29, v29
	s_waitcnt_depctr 0xfff
	v_mul_f32_e32 v29, 0x5f7ffffc, v29
	s_delay_alu instid0(VALU_DEP_1) | instskip(NEXT) | instid1(VALU_DEP_1)
	v_mul_f32_e32 v30, 0x2f800000, v29
	v_trunc_f32_e32 v30, v30
	s_delay_alu instid0(VALU_DEP_1) | instskip(SKIP_1) | instid1(VALU_DEP_2)
	v_fmamk_f32 v29, v30, 0xcf800000, v29
	v_cvt_u32_f32_e32 v30, v30
	v_cvt_u32_f32_e32 v29, v29
	s_delay_alu instid0(VALU_DEP_2) | instskip(NEXT) | instid1(VALU_DEP_2)
	v_mul_lo_u32 v49, s17, v30
	v_mul_hi_u32 v50, s17, v29
	v_mul_lo_u32 v51, s46, v29
	s_delay_alu instid0(VALU_DEP_2) | instskip(SKIP_1) | instid1(VALU_DEP_2)
	v_add_nc_u32_e32 v49, v50, v49
	v_mul_lo_u32 v50, s17, v29
	v_add_nc_u32_e32 v49, v49, v51
	s_delay_alu instid0(VALU_DEP_2) | instskip(NEXT) | instid1(VALU_DEP_2)
	v_mul_hi_u32 v51, v29, v50
	v_mul_lo_u32 v52, v29, v49
	v_mul_hi_u32 v53, v29, v49
	v_mul_hi_u32 v54, v30, v50
	v_mul_lo_u32 v50, v30, v50
	v_mul_hi_u32 v55, v30, v49
	v_mul_lo_u32 v49, v30, v49
	v_add_co_u32 v51, vcc_lo, v51, v52
	v_add_co_ci_u32_e32 v52, vcc_lo, 0, v53, vcc_lo
	s_delay_alu instid0(VALU_DEP_2) | instskip(NEXT) | instid1(VALU_DEP_2)
	v_add_co_u32 v50, vcc_lo, v51, v50
	v_add_co_ci_u32_e32 v50, vcc_lo, v52, v54, vcc_lo
	v_add_co_ci_u32_e32 v51, vcc_lo, 0, v55, vcc_lo
	s_delay_alu instid0(VALU_DEP_2) | instskip(NEXT) | instid1(VALU_DEP_2)
	v_add_co_u32 v49, vcc_lo, v50, v49
	v_add_co_ci_u32_e32 v50, vcc_lo, 0, v51, vcc_lo
	s_delay_alu instid0(VALU_DEP_2) | instskip(NEXT) | instid1(VALU_DEP_2)
	v_add_co_u32 v29, vcc_lo, v29, v49
	v_add_co_ci_u32_e32 v30, vcc_lo, v30, v50, vcc_lo
	s_delay_alu instid0(VALU_DEP_2) | instskip(SKIP_1) | instid1(VALU_DEP_3)
	v_mul_hi_u32 v49, s17, v29
	v_mul_lo_u32 v51, s46, v29
	v_mul_lo_u32 v50, s17, v30
	s_delay_alu instid0(VALU_DEP_1) | instskip(SKIP_1) | instid1(VALU_DEP_2)
	v_add_nc_u32_e32 v49, v49, v50
	v_mul_lo_u32 v50, s17, v29
	v_add_nc_u32_e32 v49, v49, v51
	s_delay_alu instid0(VALU_DEP_2) | instskip(NEXT) | instid1(VALU_DEP_2)
	v_mul_hi_u32 v51, v29, v50
	v_mul_lo_u32 v52, v29, v49
	v_mul_hi_u32 v53, v29, v49
	v_mul_hi_u32 v54, v30, v50
	v_mul_lo_u32 v50, v30, v50
	v_mul_hi_u32 v55, v30, v49
	v_mul_lo_u32 v49, v30, v49
	v_add_co_u32 v51, vcc_lo, v51, v52
	v_add_co_ci_u32_e32 v52, vcc_lo, 0, v53, vcc_lo
	s_delay_alu instid0(VALU_DEP_2) | instskip(NEXT) | instid1(VALU_DEP_2)
	v_add_co_u32 v50, vcc_lo, v51, v50
	v_add_co_ci_u32_e32 v50, vcc_lo, v52, v54, vcc_lo
	v_add_co_ci_u32_e32 v51, vcc_lo, 0, v55, vcc_lo
	s_delay_alu instid0(VALU_DEP_2) | instskip(NEXT) | instid1(VALU_DEP_2)
	v_add_co_u32 v49, vcc_lo, v50, v49
	v_add_co_ci_u32_e32 v50, vcc_lo, 0, v51, vcc_lo
	s_delay_alu instid0(VALU_DEP_2) | instskip(NEXT) | instid1(VALU_DEP_2)
	v_add_co_u32 v51, vcc_lo, v29, v49
	v_add_co_ci_u32_e32 v53, vcc_lo, v30, v50, vcc_lo
	s_delay_alu instid0(VALU_DEP_2) | instskip(SKIP_1) | instid1(VALU_DEP_3)
	v_mul_hi_u32 v54, v31, v51
	v_mad_u64_u32 v[49:50], null, v32, v51, 0
	v_mad_u64_u32 v[29:30], null, v31, v53, 0
	;; [unrolled: 1-line block ×3, first 2 shown]
	s_delay_alu instid0(VALU_DEP_2) | instskip(NEXT) | instid1(VALU_DEP_3)
	v_add_co_u32 v29, vcc_lo, v54, v29
	v_add_co_ci_u32_e32 v30, vcc_lo, 0, v30, vcc_lo
	s_delay_alu instid0(VALU_DEP_2) | instskip(NEXT) | instid1(VALU_DEP_2)
	v_add_co_u32 v29, vcc_lo, v29, v49
	v_add_co_ci_u32_e32 v29, vcc_lo, v30, v50, vcc_lo
	v_add_co_ci_u32_e32 v30, vcc_lo, 0, v52, vcc_lo
	s_delay_alu instid0(VALU_DEP_2) | instskip(NEXT) | instid1(VALU_DEP_2)
	v_add_co_u32 v49, vcc_lo, v29, v51
	v_add_co_ci_u32_e32 v50, vcc_lo, 0, v30, vcc_lo
	s_delay_alu instid0(VALU_DEP_2) | instskip(SKIP_1) | instid1(VALU_DEP_3)
	v_mul_lo_u32 v51, s39, v49
	v_mad_u64_u32 v[29:30], null, s38, v49, 0
	v_mul_lo_u32 v52, s38, v50
	s_delay_alu instid0(VALU_DEP_2) | instskip(NEXT) | instid1(VALU_DEP_2)
	v_sub_co_u32 v29, vcc_lo, v31, v29
	v_add3_u32 v30, v30, v52, v51
	s_delay_alu instid0(VALU_DEP_1) | instskip(NEXT) | instid1(VALU_DEP_1)
	v_sub_nc_u32_e32 v51, v32, v30
	v_subrev_co_ci_u32_e64 v31, s17, s39, v51, vcc_lo
	v_add_co_u32 v51, s17, v49, 2
	s_delay_alu instid0(VALU_DEP_1) | instskip(SKIP_3) | instid1(VALU_DEP_3)
	v_add_co_ci_u32_e64 v52, s17, 0, v50, s17
	v_sub_co_u32 v53, s17, v29, s38
	v_sub_co_ci_u32_e32 v30, vcc_lo, v32, v30, vcc_lo
	v_subrev_co_ci_u32_e64 v31, s17, 0, v31, s17
	v_cmp_le_u32_e32 vcc_lo, s38, v53
	s_delay_alu instid0(VALU_DEP_3) | instskip(SKIP_1) | instid1(VALU_DEP_4)
	v_cmp_eq_u32_e64 s17, s39, v30
	v_cndmask_b32_e64 v32, 0, -1, vcc_lo
	v_cmp_le_u32_e32 vcc_lo, s39, v31
	v_cndmask_b32_e64 v53, 0, -1, vcc_lo
	v_cmp_le_u32_e32 vcc_lo, s38, v29
	;; [unrolled: 2-line block ×3, first 2 shown]
	v_cndmask_b32_e64 v54, 0, -1, vcc_lo
	v_cmp_eq_u32_e32 vcc_lo, s39, v31
	s_delay_alu instid0(VALU_DEP_2) | instskip(SKIP_3) | instid1(VALU_DEP_3)
	v_cndmask_b32_e64 v29, v54, v29, s17
	v_cndmask_b32_e32 v31, v53, v32, vcc_lo
	v_add_co_u32 v32, vcc_lo, v49, 1
	v_add_co_ci_u32_e32 v53, vcc_lo, 0, v50, vcc_lo
	v_cmp_ne_u32_e32 vcc_lo, 0, v31
	s_delay_alu instid0(VALU_DEP_2) | instskip(SKIP_1) | instid1(VALU_DEP_2)
	v_dual_cndmask_b32 v30, v53, v52 :: v_dual_cndmask_b32 v31, v32, v51
	v_cmp_ne_u32_e32 vcc_lo, 0, v29
	v_dual_cndmask_b32 v30, v50, v30 :: v_dual_cndmask_b32 v29, v49, v31
                                        ; implicit-def: $vgpr31
.LBB21_95:
	s_and_not1_saveexec_b32 s17, s19
	s_cbranch_execz .LBB21_97
; %bb.96:
	v_cvt_f32_u32_e32 v29, s38
	s_sub_i32 s19, 0, s38
	s_delay_alu instid0(VALU_DEP_1) | instskip(SKIP_2) | instid1(VALU_DEP_1)
	v_rcp_iflag_f32_e32 v29, v29
	s_waitcnt_depctr 0xfff
	v_mul_f32_e32 v29, 0x4f7ffffe, v29
	v_cvt_u32_f32_e32 v29, v29
	s_delay_alu instid0(VALU_DEP_1) | instskip(NEXT) | instid1(VALU_DEP_1)
	v_mul_lo_u32 v30, s19, v29
	v_mul_hi_u32 v30, v29, v30
	s_delay_alu instid0(VALU_DEP_1) | instskip(NEXT) | instid1(VALU_DEP_1)
	v_add_nc_u32_e32 v29, v29, v30
	v_mul_hi_u32 v29, v31, v29
	s_delay_alu instid0(VALU_DEP_1) | instskip(NEXT) | instid1(VALU_DEP_1)
	v_mul_lo_u32 v30, v29, s38
	v_sub_nc_u32_e32 v30, v31, v30
	v_add_nc_u32_e32 v31, 1, v29
	s_delay_alu instid0(VALU_DEP_2) | instskip(SKIP_1) | instid1(VALU_DEP_2)
	v_subrev_nc_u32_e32 v32, s38, v30
	v_cmp_le_u32_e32 vcc_lo, s38, v30
	v_dual_cndmask_b32 v30, v30, v32 :: v_dual_cndmask_b32 v29, v29, v31
	s_delay_alu instid0(VALU_DEP_1) | instskip(NEXT) | instid1(VALU_DEP_2)
	v_cmp_le_u32_e32 vcc_lo, s38, v30
	v_dual_mov_b32 v30, 0 :: v_dual_add_nc_u32 v31, 1, v29
	s_delay_alu instid0(VALU_DEP_1)
	v_cndmask_b32_e32 v29, v29, v31, vcc_lo
.LBB21_97:
	s_or_b32 exec_lo, exec_lo, s17
.LBB21_98:
	s_delay_alu instid0(SALU_CYCLE_1) | instskip(SKIP_2) | instid1(VALU_DEP_2)
	s_or_b32 exec_lo, exec_lo, s18
	v_or_b32_e32 v49, 0xf00, v0
	v_dual_mov_b32 v31, v33 :: v_dual_mov_b32 v32, v34
	v_cmp_gt_u32_e64 s17, s52, v49
	s_delay_alu instid0(VALU_DEP_1)
	s_and_saveexec_b32 s19, s17
	s_cbranch_execz .LBB21_104
; %bb.99:
	v_add_co_u32 v50, s18, s40, v49
	s_delay_alu instid0(VALU_DEP_1) | instskip(SKIP_1) | instid1(VALU_DEP_2)
	v_add_co_ci_u32_e64 v51, null, s41, 0, s18
	v_mov_b32_e32 v31, 0
	v_or_b32_e32 v32, s39, v51
	s_delay_alu instid0(VALU_DEP_1) | instskip(SKIP_1) | instid1(SALU_CYCLE_1)
	v_cmp_ne_u64_e32 vcc_lo, 0, v[31:32]
                                        ; implicit-def: $vgpr31_vgpr32
	s_and_saveexec_b32 s18, vcc_lo
	s_xor_b32 s46, exec_lo, s18
	s_cbranch_execz .LBB21_101
; %bb.100:
	v_cvt_f32_u32_e32 v31, s38
	v_cvt_f32_u32_e32 v32, s39
	s_sub_u32 s18, 0, s38
	s_subb_u32 s47, 0, s39
	s_delay_alu instid0(VALU_DEP_1) | instskip(NEXT) | instid1(VALU_DEP_1)
	v_fmamk_f32 v31, v32, 0x4f800000, v31
	v_rcp_f32_e32 v31, v31
	s_waitcnt_depctr 0xfff
	v_mul_f32_e32 v31, 0x5f7ffffc, v31
	s_delay_alu instid0(VALU_DEP_1) | instskip(NEXT) | instid1(VALU_DEP_1)
	v_mul_f32_e32 v32, 0x2f800000, v31
	v_trunc_f32_e32 v32, v32
	s_delay_alu instid0(VALU_DEP_1) | instskip(SKIP_1) | instid1(VALU_DEP_2)
	v_fmamk_f32 v31, v32, 0xcf800000, v31
	v_cvt_u32_f32_e32 v32, v32
	v_cvt_u32_f32_e32 v31, v31
	s_delay_alu instid0(VALU_DEP_2) | instskip(NEXT) | instid1(VALU_DEP_2)
	v_mul_lo_u32 v52, s18, v32
	v_mul_hi_u32 v53, s18, v31
	v_mul_lo_u32 v54, s47, v31
	s_delay_alu instid0(VALU_DEP_2) | instskip(SKIP_1) | instid1(VALU_DEP_2)
	v_add_nc_u32_e32 v52, v53, v52
	v_mul_lo_u32 v53, s18, v31
	v_add_nc_u32_e32 v52, v52, v54
	s_delay_alu instid0(VALU_DEP_2) | instskip(NEXT) | instid1(VALU_DEP_2)
	v_mul_hi_u32 v54, v31, v53
	v_mul_lo_u32 v55, v31, v52
	v_mul_hi_u32 v56, v31, v52
	v_mul_hi_u32 v57, v32, v53
	v_mul_lo_u32 v53, v32, v53
	v_mul_hi_u32 v58, v32, v52
	v_mul_lo_u32 v52, v32, v52
	v_add_co_u32 v54, vcc_lo, v54, v55
	v_add_co_ci_u32_e32 v55, vcc_lo, 0, v56, vcc_lo
	s_delay_alu instid0(VALU_DEP_2) | instskip(NEXT) | instid1(VALU_DEP_2)
	v_add_co_u32 v53, vcc_lo, v54, v53
	v_add_co_ci_u32_e32 v53, vcc_lo, v55, v57, vcc_lo
	v_add_co_ci_u32_e32 v54, vcc_lo, 0, v58, vcc_lo
	s_delay_alu instid0(VALU_DEP_2) | instskip(NEXT) | instid1(VALU_DEP_2)
	v_add_co_u32 v52, vcc_lo, v53, v52
	v_add_co_ci_u32_e32 v53, vcc_lo, 0, v54, vcc_lo
	s_delay_alu instid0(VALU_DEP_2) | instskip(NEXT) | instid1(VALU_DEP_2)
	v_add_co_u32 v31, vcc_lo, v31, v52
	v_add_co_ci_u32_e32 v32, vcc_lo, v32, v53, vcc_lo
	s_delay_alu instid0(VALU_DEP_2) | instskip(SKIP_1) | instid1(VALU_DEP_3)
	v_mul_hi_u32 v52, s18, v31
	v_mul_lo_u32 v54, s47, v31
	v_mul_lo_u32 v53, s18, v32
	s_delay_alu instid0(VALU_DEP_1) | instskip(SKIP_1) | instid1(VALU_DEP_2)
	v_add_nc_u32_e32 v52, v52, v53
	v_mul_lo_u32 v53, s18, v31
	v_add_nc_u32_e32 v52, v52, v54
	s_delay_alu instid0(VALU_DEP_2) | instskip(NEXT) | instid1(VALU_DEP_2)
	v_mul_hi_u32 v54, v31, v53
	v_mul_lo_u32 v55, v31, v52
	v_mul_hi_u32 v56, v31, v52
	v_mul_hi_u32 v57, v32, v53
	v_mul_lo_u32 v53, v32, v53
	v_mul_hi_u32 v58, v32, v52
	v_mul_lo_u32 v52, v32, v52
	v_add_co_u32 v54, vcc_lo, v54, v55
	v_add_co_ci_u32_e32 v55, vcc_lo, 0, v56, vcc_lo
	s_delay_alu instid0(VALU_DEP_2) | instskip(NEXT) | instid1(VALU_DEP_2)
	v_add_co_u32 v53, vcc_lo, v54, v53
	v_add_co_ci_u32_e32 v53, vcc_lo, v55, v57, vcc_lo
	v_add_co_ci_u32_e32 v54, vcc_lo, 0, v58, vcc_lo
	s_delay_alu instid0(VALU_DEP_2) | instskip(NEXT) | instid1(VALU_DEP_2)
	v_add_co_u32 v52, vcc_lo, v53, v52
	v_add_co_ci_u32_e32 v53, vcc_lo, 0, v54, vcc_lo
	s_delay_alu instid0(VALU_DEP_2) | instskip(NEXT) | instid1(VALU_DEP_2)
	v_add_co_u32 v54, vcc_lo, v31, v52
	v_add_co_ci_u32_e32 v56, vcc_lo, v32, v53, vcc_lo
	s_delay_alu instid0(VALU_DEP_2) | instskip(SKIP_1) | instid1(VALU_DEP_3)
	v_mul_hi_u32 v57, v50, v54
	v_mad_u64_u32 v[52:53], null, v51, v54, 0
	v_mad_u64_u32 v[31:32], null, v50, v56, 0
	;; [unrolled: 1-line block ×3, first 2 shown]
	s_delay_alu instid0(VALU_DEP_2) | instskip(NEXT) | instid1(VALU_DEP_3)
	v_add_co_u32 v31, vcc_lo, v57, v31
	v_add_co_ci_u32_e32 v32, vcc_lo, 0, v32, vcc_lo
	s_delay_alu instid0(VALU_DEP_2) | instskip(NEXT) | instid1(VALU_DEP_2)
	v_add_co_u32 v31, vcc_lo, v31, v52
	v_add_co_ci_u32_e32 v31, vcc_lo, v32, v53, vcc_lo
	v_add_co_ci_u32_e32 v32, vcc_lo, 0, v55, vcc_lo
	s_delay_alu instid0(VALU_DEP_2) | instskip(NEXT) | instid1(VALU_DEP_2)
	v_add_co_u32 v52, vcc_lo, v31, v54
	v_add_co_ci_u32_e32 v53, vcc_lo, 0, v32, vcc_lo
	s_delay_alu instid0(VALU_DEP_2) | instskip(SKIP_1) | instid1(VALU_DEP_3)
	v_mul_lo_u32 v54, s39, v52
	v_mad_u64_u32 v[31:32], null, s38, v52, 0
	v_mul_lo_u32 v55, s38, v53
	s_delay_alu instid0(VALU_DEP_2) | instskip(NEXT) | instid1(VALU_DEP_2)
	v_sub_co_u32 v31, vcc_lo, v50, v31
	v_add3_u32 v32, v32, v55, v54
	s_delay_alu instid0(VALU_DEP_1) | instskip(NEXT) | instid1(VALU_DEP_1)
	v_sub_nc_u32_e32 v54, v51, v32
	v_subrev_co_ci_u32_e64 v50, s18, s39, v54, vcc_lo
	v_add_co_u32 v54, s18, v52, 2
	s_delay_alu instid0(VALU_DEP_1) | instskip(SKIP_3) | instid1(VALU_DEP_3)
	v_add_co_ci_u32_e64 v55, s18, 0, v53, s18
	v_sub_co_u32 v56, s18, v31, s38
	v_sub_co_ci_u32_e32 v32, vcc_lo, v51, v32, vcc_lo
	v_subrev_co_ci_u32_e64 v50, s18, 0, v50, s18
	v_cmp_le_u32_e32 vcc_lo, s38, v56
	s_delay_alu instid0(VALU_DEP_3) | instskip(SKIP_1) | instid1(VALU_DEP_4)
	v_cmp_eq_u32_e64 s18, s39, v32
	v_cndmask_b32_e64 v51, 0, -1, vcc_lo
	v_cmp_le_u32_e32 vcc_lo, s39, v50
	v_cndmask_b32_e64 v56, 0, -1, vcc_lo
	v_cmp_le_u32_e32 vcc_lo, s38, v31
	;; [unrolled: 2-line block ×3, first 2 shown]
	v_cndmask_b32_e64 v57, 0, -1, vcc_lo
	v_cmp_eq_u32_e32 vcc_lo, s39, v50
	s_delay_alu instid0(VALU_DEP_2) | instskip(SKIP_3) | instid1(VALU_DEP_3)
	v_cndmask_b32_e64 v31, v57, v31, s18
	v_cndmask_b32_e32 v50, v56, v51, vcc_lo
	v_add_co_u32 v51, vcc_lo, v52, 1
	v_add_co_ci_u32_e32 v56, vcc_lo, 0, v53, vcc_lo
	v_cmp_ne_u32_e32 vcc_lo, 0, v50
	s_delay_alu instid0(VALU_DEP_3) | instskip(NEXT) | instid1(VALU_DEP_3)
	v_cndmask_b32_e32 v50, v51, v54, vcc_lo
	v_cndmask_b32_e32 v32, v56, v55, vcc_lo
	v_cmp_ne_u32_e32 vcc_lo, 0, v31
	s_delay_alu instid0(VALU_DEP_2)
	v_dual_cndmask_b32 v32, v53, v32 :: v_dual_cndmask_b32 v31, v52, v50
                                        ; implicit-def: $vgpr50
.LBB21_101:
	s_and_not1_saveexec_b32 s18, s46
	s_cbranch_execz .LBB21_103
; %bb.102:
	v_cvt_f32_u32_e32 v31, s38
	s_sub_i32 s46, 0, s38
	s_delay_alu instid0(VALU_DEP_1) | instskip(SKIP_2) | instid1(VALU_DEP_1)
	v_rcp_iflag_f32_e32 v31, v31
	s_waitcnt_depctr 0xfff
	v_mul_f32_e32 v31, 0x4f7ffffe, v31
	v_cvt_u32_f32_e32 v31, v31
	s_delay_alu instid0(VALU_DEP_1) | instskip(NEXT) | instid1(VALU_DEP_1)
	v_mul_lo_u32 v32, s46, v31
	v_mul_hi_u32 v32, v31, v32
	s_delay_alu instid0(VALU_DEP_1) | instskip(NEXT) | instid1(VALU_DEP_1)
	v_add_nc_u32_e32 v31, v31, v32
	v_mul_hi_u32 v31, v50, v31
	s_delay_alu instid0(VALU_DEP_1) | instskip(NEXT) | instid1(VALU_DEP_1)
	v_mul_lo_u32 v32, v31, s38
	v_sub_nc_u32_e32 v32, v50, v32
	v_add_nc_u32_e32 v50, 1, v31
	s_delay_alu instid0(VALU_DEP_2) | instskip(SKIP_1) | instid1(VALU_DEP_2)
	v_subrev_nc_u32_e32 v51, s38, v32
	v_cmp_le_u32_e32 vcc_lo, s38, v32
	v_dual_cndmask_b32 v32, v32, v51 :: v_dual_cndmask_b32 v31, v31, v50
	s_delay_alu instid0(VALU_DEP_1) | instskip(NEXT) | instid1(VALU_DEP_2)
	v_cmp_le_u32_e32 vcc_lo, s38, v32
	v_add_nc_u32_e32 v50, 1, v31
	s_delay_alu instid0(VALU_DEP_1)
	v_dual_mov_b32 v32, 0 :: v_dual_cndmask_b32 v31, v31, v50
.LBB21_103:
	s_or_b32 exec_lo, exec_lo, s18
.LBB21_104:
	s_delay_alu instid0(SALU_CYCLE_1)
	s_or_b32 exec_lo, exec_lo, s19
	v_lshrrev_b32_e32 v50, 5, v0
	v_lshrrev_b32_e32 v35, 5, v35
	;; [unrolled: 1-line block ×5, first 2 shown]
	v_add_nc_u32_e32 v37, v50, v0
	v_add_nc_u32_e32 v35, v35, v0
	v_lshrrev_b32_e32 v50, 5, v36
	v_lshrrev_b32_e32 v55, 5, v40
	v_add_nc_u32_e32 v53, v51, v0
	v_lshlrev_b32_e32 v56, 3, v37
	v_add_nc_u32_e32 v52, v39, v0
	v_lshlrev_b32_e32 v57, 3, v35
	v_add_nc_u32_e32 v39, v50, v0
	v_add_nc_u32_e32 v51, v54, v0
	ds_store_b64 v56, v[1:2]
	ds_store_b64 v57, v[3:4] offset:2048
	v_lshlrev_b32_e32 v1, 3, v53
	v_lshlrev_b32_e32 v2, 3, v52
	v_add_nc_u32_e32 v50, v55, v0
	v_lshlrev_b32_e32 v3, 3, v39
	v_lshrrev_b32_e32 v4, 5, v43
	ds_store_b64 v1, v[5:6] offset:4096
	v_lshlrev_b32_e32 v1, 3, v51
	ds_store_b64 v2, v[7:8] offset:6144
	ds_store_b64 v3, v[9:10] offset:8192
	v_lshlrev_b32_e32 v2, 3, v50
	v_lshrrev_b32_e32 v3, 5, v41
	v_add_nc_u32_e32 v55, v4, v0
	ds_store_b64 v1, v[11:12] offset:10240
	v_lshrrev_b32_e32 v1, 5, v42
	ds_store_b64 v2, v[13:14] offset:12288
	v_lshrrev_b32_e32 v2, 5, v44
	v_add_nc_u32_e32 v54, v3, v0
	v_lshlrev_b32_e32 v4, 3, v55
	v_add_nc_u32_e32 v56, v1, v0
	v_lshrrev_b32_e32 v1, 5, v45
	v_add_nc_u32_e32 v58, v2, v0
	v_lshlrev_b32_e32 v3, 3, v54
	v_lshlrev_b32_e32 v65, 4, v0
	;; [unrolled: 1-line block ×3, first 2 shown]
	v_add_nc_u32_e32 v57, v1, v0
	v_lshlrev_b32_e32 v1, 3, v58
	ds_store_b64 v3, v[15:16] offset:14336
	ds_store_b64 v2, v[17:18] offset:16384
	;; [unrolled: 1-line block ×3, first 2 shown]
	v_lshlrev_b32_e32 v2, 3, v57
	ds_store_b64 v1, v[21:22] offset:20480
	v_lshrrev_b32_e32 v1, 5, v47
	v_lshrrev_b32_e32 v3, 5, v46
	;; [unrolled: 1-line block ×3, first 2 shown]
	ds_store_b64 v2, v[23:24] offset:22528
	v_lshrrev_b32_e32 v2, 5, v49
	v_add_nc_u32_e32 v61, v1, v0
	v_lshrrev_b32_e32 v1, 1, v0
	v_add_nc_u32_e32 v59, v3, v0
	v_add_nc_u32_e32 v60, v4, v0
	;; [unrolled: 1-line block ×3, first 2 shown]
	v_lshlrev_b32_e32 v3, 3, v61
	v_add_nc_u32_e32 v67, v1, v65
	v_lshlrev_b32_e32 v2, 3, v59
	v_lshlrev_b32_e32 v4, 3, v60
	;; [unrolled: 1-line block ×3, first 2 shown]
	ds_store_b64 v2, v[25:26] offset:24576
	ds_store_b64 v3, v[27:28] offset:26624
	;; [unrolled: 1-line block ×3, first 2 shown]
	v_lshlrev_b32_e32 v5, 3, v67
	ds_store_b64 v1, v[31:32] offset:30720
	s_waitcnt lgkmcnt(0)
	s_barrier
	buffer_gl0_inv
	ds_load_2addr_b64 v[29:32], v5 offset1:1
	ds_load_2addr_b64 v[25:28], v5 offset0:2 offset1:3
	ds_load_2addr_b64 v[21:24], v5 offset0:4 offset1:5
	;; [unrolled: 1-line block ×7, first 2 shown]
	s_cmp_eq_u64 s[42:43], 0
	s_cbranch_scc1 .LBB21_113
; %bb.105:
	s_and_not1_b32 vcc_lo, exec_lo, s51
	s_cbranch_vccnz .LBB21_109
; %bb.106:
	s_lshl_b64 s[18:19], s[42:43], 3
	s_delay_alu instid0(SALU_CYCLE_1)
	s_add_u32 s18, s26, s18
	s_addc_u32 s19, s27, s19
	s_add_u32 s18, s18, -8
	s_addc_u32 s19, s19, -1
	s_load_b64 s[18:19], s[18:19], 0x0
	s_waitcnt lgkmcnt(0)
	v_dual_mov_b32 v34, s19 :: v_dual_mov_b32 v33, s18
	s_cbranch_execz .LBB21_110
	s_branch .LBB21_113
.LBB21_107:
                                        ; implicit-def: $sgpr0
                                        ; implicit-def: $vgpr66
                                        ; implicit-def: $vgpr35_vgpr36
                                        ; implicit-def: $vgpr37_vgpr38
                                        ; implicit-def: $vgpr39_vgpr40
                                        ; implicit-def: $vgpr41_vgpr42
                                        ; implicit-def: $vgpr43_vgpr44
                                        ; implicit-def: $vgpr45_vgpr46
                                        ; implicit-def: $vgpr47_vgpr48
                                        ; implicit-def: $vgpr49_vgpr50
                                        ; implicit-def: $vgpr51_vgpr52
                                        ; implicit-def: $vgpr53_vgpr54
                                        ; implicit-def: $vgpr55_vgpr56
                                        ; implicit-def: $vgpr57_vgpr58
                                        ; implicit-def: $vgpr59_vgpr60
                                        ; implicit-def: $vgpr61_vgpr62
                                        ; implicit-def: $vgpr63_vgpr64
                                        ; implicit-def: $sgpr4_sgpr5
	s_cbranch_execnz .LBB21_163
	s_branch .LBB21_257
.LBB21_108:
                                        ; implicit-def: $vgpr33_vgpr34
	s_branch .LBB21_7
.LBB21_109:
                                        ; implicit-def: $sgpr18_sgpr19
	v_dual_mov_b32 v34, s19 :: v_dual_mov_b32 v33, s18
.LBB21_110:
	s_add_u32 s46, s40, -1
	s_addc_u32 s47, s41, -1
	s_delay_alu instid0(SALU_CYCLE_1) | instskip(SKIP_1) | instid1(SALU_CYCLE_1)
	s_or_b64 s[48:49], s[46:47], s[38:39]
	s_mov_b32 s48, 0
	s_cmp_lg_u64 s[48:49], 0
	s_cbranch_scc0 .LBB21_354
; %bb.111:
	v_cvt_f32_u32_e32 v33, s38
	v_cvt_f32_u32_e32 v34, s39
	s_sub_u32 s49, 0, s38
	s_subb_u32 s53, 0, s39
	s_delay_alu instid0(VALU_DEP_1) | instskip(NEXT) | instid1(VALU_DEP_1)
	v_fmamk_f32 v33, v34, 0x4f800000, v33
	v_rcp_f32_e32 v33, v33
	s_waitcnt_depctr 0xfff
	v_mul_f32_e32 v33, 0x5f7ffffc, v33
	s_delay_alu instid0(VALU_DEP_1) | instskip(NEXT) | instid1(VALU_DEP_1)
	v_mul_f32_e32 v34, 0x2f800000, v33
	v_trunc_f32_e32 v34, v34
	s_delay_alu instid0(VALU_DEP_1) | instskip(SKIP_1) | instid1(VALU_DEP_2)
	v_fmamk_f32 v33, v34, 0xcf800000, v33
	v_cvt_u32_f32_e32 v34, v34
	v_cvt_u32_f32_e32 v33, v33
	s_delay_alu instid0(VALU_DEP_2) | instskip(NEXT) | instid1(VALU_DEP_2)
	v_readfirstlane_b32 s18, v34
	v_readfirstlane_b32 s19, v33
	s_delay_alu instid0(VALU_DEP_2) | instskip(NEXT) | instid1(VALU_DEP_1)
	s_mul_i32 s54, s49, s18
	s_mul_hi_u32 s56, s49, s19
	s_mul_i32 s55, s53, s19
	s_add_i32 s54, s56, s54
	s_mul_i32 s57, s49, s19
	s_add_i32 s54, s54, s55
	s_mul_hi_u32 s56, s19, s57
	s_mul_hi_u32 s58, s18, s57
	s_mul_i32 s55, s18, s57
	s_mul_hi_u32 s57, s19, s54
	s_mul_i32 s19, s19, s54
	s_mul_hi_u32 s59, s18, s54
	s_add_u32 s19, s56, s19
	s_addc_u32 s56, 0, s57
	s_add_u32 s19, s19, s55
	s_mul_i32 s54, s18, s54
	s_addc_u32 s19, s56, s58
	s_addc_u32 s55, s59, 0
	s_add_u32 s19, s19, s54
	s_addc_u32 s54, 0, s55
	v_add_co_u32 v33, s19, v33, s19
	s_delay_alu instid0(VALU_DEP_1) | instskip(SKIP_1) | instid1(VALU_DEP_1)
	s_cmp_lg_u32 s19, 0
	s_addc_u32 s18, s18, s54
	v_readfirstlane_b32 s19, v33
	s_mul_i32 s54, s49, s18
	s_delay_alu instid0(VALU_DEP_1)
	s_mul_hi_u32 s55, s49, s19
	s_mul_i32 s53, s53, s19
	s_add_i32 s54, s55, s54
	s_mul_i32 s49, s49, s19
	s_add_i32 s54, s54, s53
	s_mul_hi_u32 s55, s18, s49
	s_mul_i32 s56, s18, s49
	s_mul_hi_u32 s49, s19, s49
	s_mul_hi_u32 s57, s19, s54
	s_mul_i32 s19, s19, s54
	s_mul_hi_u32 s53, s18, s54
	s_add_u32 s19, s49, s19
	s_addc_u32 s49, 0, s57
	s_add_u32 s19, s19, s56
	s_mul_i32 s54, s18, s54
	s_addc_u32 s19, s49, s55
	s_addc_u32 s49, s53, 0
	s_add_u32 s19, s19, s54
	s_addc_u32 s49, 0, s49
	v_add_co_u32 v33, s19, v33, s19
	s_delay_alu instid0(VALU_DEP_1) | instskip(SKIP_1) | instid1(VALU_DEP_1)
	s_cmp_lg_u32 s19, 0
	s_addc_u32 s18, s18, s49
	v_readfirstlane_b32 s19, v33
	s_mul_i32 s53, s46, s18
	s_mul_hi_u32 s49, s46, s18
	s_mul_hi_u32 s54, s47, s18
	s_mul_i32 s18, s47, s18
	s_mul_hi_u32 s55, s46, s19
	s_mul_hi_u32 s56, s47, s19
	s_mul_i32 s19, s47, s19
	s_add_u32 s53, s55, s53
	s_addc_u32 s49, 0, s49
	s_add_u32 s19, s53, s19
	s_addc_u32 s19, s49, s56
	s_addc_u32 s49, s54, 0
	s_add_u32 s19, s19, s18
	s_addc_u32 s49, 0, s49
	s_mul_hi_u32 s18, s38, s19
	s_mul_i32 s54, s38, s49
	s_mul_i32 s55, s38, s19
	s_add_i32 s18, s18, s54
	v_sub_co_u32 v33, s54, s46, s55
	s_mul_i32 s53, s39, s19
	s_delay_alu instid0(SALU_CYCLE_1) | instskip(NEXT) | instid1(VALU_DEP_1)
	s_add_i32 s18, s18, s53
	v_sub_co_u32 v34, s55, v33, s38
	s_sub_i32 s53, s47, s18
	s_cmp_lg_u32 s54, 0
	s_subb_u32 s53, s53, s39
	s_cmp_lg_u32 s55, 0
	v_cmp_le_u32_e32 vcc_lo, s38, v34
	s_subb_u32 s53, s53, 0
	s_delay_alu instid0(SALU_CYCLE_1)
	s_cmp_ge_u32 s53, s39
	v_cndmask_b32_e64 v34, 0, -1, vcc_lo
	s_cselect_b32 s55, -1, 0
	s_cmp_eq_u32 s53, s39
	s_cselect_b32 vcc_lo, -1, 0
	s_add_u32 s53, s19, 1
	v_cndmask_b32_e32 v34, s55, v34, vcc_lo
	s_addc_u32 s55, s49, 0
	s_add_u32 s56, s19, 2
	s_addc_u32 s57, s49, 0
	v_mov_b32_e32 v63, s56
	s_cmp_lg_u32 s54, 0
	v_cmp_le_u32_e32 vcc_lo, s38, v33
	s_subb_u32 s18, s47, s18
	s_delay_alu instid0(SALU_CYCLE_1)
	s_cmp_ge_u32 s18, s39
	v_cndmask_b32_e64 v33, 0, -1, vcc_lo
	s_cselect_b32 s47, -1, 0
	s_cmp_eq_u32 s18, s39
	v_cmp_ne_u32_e32 vcc_lo, 0, v34
	s_cselect_b32 s18, -1, 0
	v_mov_b32_e32 v34, s57
	v_cndmask_b32_e64 v33, s47, v33, s18
	v_cndmask_b32_e32 v63, s53, v63, vcc_lo
	s_delay_alu instid0(VALU_DEP_3) | instskip(NEXT) | instid1(VALU_DEP_3)
	v_cndmask_b32_e32 v34, s55, v34, vcc_lo
	v_cmp_ne_u32_e32 vcc_lo, 0, v33
	s_delay_alu instid0(VALU_DEP_2) | instskip(NEXT) | instid1(VALU_DEP_4)
	v_cndmask_b32_e32 v34, s49, v34, vcc_lo
	v_cndmask_b32_e32 v33, s19, v63, vcc_lo
	s_and_not1_b32 vcc_lo, exec_lo, s48
	s_cbranch_vccnz .LBB21_113
.LBB21_112:
	v_cvt_f32_u32_e32 v33, s38
	s_sub_i32 s19, 0, s38
	s_delay_alu instid0(VALU_DEP_1) | instskip(SKIP_2) | instid1(VALU_DEP_1)
	v_rcp_iflag_f32_e32 v33, v33
	s_waitcnt_depctr 0xfff
	v_mul_f32_e32 v33, 0x4f7ffffe, v33
	v_cvt_u32_f32_e32 v33, v33
	s_delay_alu instid0(VALU_DEP_1) | instskip(NEXT) | instid1(VALU_DEP_1)
	v_readfirstlane_b32 s18, v33
	s_mul_i32 s19, s19, s18
	s_delay_alu instid0(SALU_CYCLE_1) | instskip(NEXT) | instid1(SALU_CYCLE_1)
	s_mul_hi_u32 s19, s18, s19
	s_add_i32 s18, s18, s19
	s_delay_alu instid0(SALU_CYCLE_1) | instskip(NEXT) | instid1(SALU_CYCLE_1)
	s_mul_hi_u32 s18, s46, s18
	s_mul_i32 s19, s18, s38
	s_delay_alu instid0(SALU_CYCLE_1)
	s_sub_i32 s19, s46, s19
	s_add_i32 s46, s18, 1
	s_sub_i32 s47, s19, s38
	s_cmp_ge_u32 s19, s38
	s_cselect_b32 s18, s46, s18
	s_cselect_b32 s19, s47, s19
	s_add_i32 s46, s18, 1
	s_cmp_ge_u32 s19, s38
	s_mov_b32 s19, 0
	s_cselect_b32 s18, s46, s18
	s_delay_alu instid0(SALU_CYCLE_1)
	v_dual_mov_b32 v34, s19 :: v_dual_mov_b32 v33, s18
.LBB21_113:
	v_lshlrev_b32_e32 v63, 3, v0
	s_waitcnt lgkmcnt(0)
	ds_store_b64 v63, v[7:8] offset:33792
	s_waitcnt lgkmcnt(0)
	s_barrier
	buffer_gl0_inv
	s_and_saveexec_b32 s18, s3
	s_cbranch_execz .LBB21_115
; %bb.114:
	ds_load_b64 v[33:34], v63 offset:33784
.LBB21_115:
	s_or_b32 exec_lo, exec_lo, s18
	s_waitcnt lgkmcnt(0)
	s_barrier
	buffer_gl0_inv
                                        ; implicit-def: $vgpr63
	s_and_saveexec_b32 s18, s0
	s_cbranch_execnz .LBB21_230
; %bb.116:
	s_or_b32 exec_lo, exec_lo, s18
                                        ; implicit-def: $vgpr64
	s_and_saveexec_b32 s0, s1
	s_cbranch_execnz .LBB21_231
.LBB21_117:
	s_or_b32 exec_lo, exec_lo, s0
                                        ; implicit-def: $vgpr66
	s_and_saveexec_b32 s0, s4
	s_cbranch_execnz .LBB21_232
.LBB21_118:
	s_or_b32 exec_lo, exec_lo, s0
                                        ; implicit-def: $vgpr68
	s_and_saveexec_b32 s0, s5
	s_cbranch_execnz .LBB21_233
.LBB21_119:
	s_or_b32 exec_lo, exec_lo, s0
                                        ; implicit-def: $vgpr69
	s_and_saveexec_b32 s0, s6
	s_cbranch_execnz .LBB21_234
.LBB21_120:
	s_or_b32 exec_lo, exec_lo, s0
                                        ; implicit-def: $vgpr36
	s_and_saveexec_b32 s0, s7
	s_cbranch_execnz .LBB21_235
.LBB21_121:
	s_or_b32 exec_lo, exec_lo, s0
                                        ; implicit-def: $vgpr38
	s_and_saveexec_b32 s0, s8
	s_cbranch_execnz .LBB21_236
.LBB21_122:
	s_or_b32 exec_lo, exec_lo, s0
                                        ; implicit-def: $vgpr40
	s_and_saveexec_b32 s0, s9
	s_cbranch_execnz .LBB21_237
.LBB21_123:
	s_or_b32 exec_lo, exec_lo, s0
                                        ; implicit-def: $vgpr41
	s_and_saveexec_b32 s0, s10
	s_cbranch_execnz .LBB21_238
.LBB21_124:
	s_or_b32 exec_lo, exec_lo, s0
                                        ; implicit-def: $vgpr42
	s_and_saveexec_b32 s0, s11
	s_cbranch_execnz .LBB21_239
.LBB21_125:
	s_or_b32 exec_lo, exec_lo, s0
                                        ; implicit-def: $vgpr43
	s_and_saveexec_b32 s0, s12
	s_cbranch_execnz .LBB21_240
.LBB21_126:
	s_or_b32 exec_lo, exec_lo, s0
                                        ; implicit-def: $vgpr44
	s_and_saveexec_b32 s0, s13
	s_cbranch_execnz .LBB21_241
.LBB21_127:
	s_or_b32 exec_lo, exec_lo, s0
                                        ; implicit-def: $vgpr45
	s_and_saveexec_b32 s0, s14
	s_cbranch_execnz .LBB21_242
.LBB21_128:
	s_or_b32 exec_lo, exec_lo, s0
                                        ; implicit-def: $vgpr46
	s_and_saveexec_b32 s0, s15
	s_cbranch_execnz .LBB21_243
.LBB21_129:
	s_or_b32 exec_lo, exec_lo, s0
                                        ; implicit-def: $vgpr47
	s_and_saveexec_b32 s0, s16
	s_cbranch_execnz .LBB21_244
.LBB21_130:
	s_or_b32 exec_lo, exec_lo, s0
                                        ; implicit-def: $vgpr48
	s_and_saveexec_b32 s0, s17
	s_cbranch_execz .LBB21_132
.LBB21_131:
	v_lshlrev_b32_e32 v48, 2, v49
	s_delay_alu instid0(VALU_DEP_1) | instskip(NEXT) | instid1(VALU_DEP_1)
	v_add_co_u32 v48, s1, s33, v48
	v_add_co_ci_u32_e64 v49, null, s50, 0, s1
	flat_load_b32 v48, v[48:49]
.LBB21_132:
	s_or_b32 exec_lo, exec_lo, s0
	v_lshlrev_b32_e32 v37, 2, v37
	v_lshlrev_b32_e32 v35, 2, v35
	;; [unrolled: 1-line block ×4, first 2 shown]
	v_cmp_gt_u32_e32 vcc_lo, s52, v65
	s_waitcnt vmcnt(0) lgkmcnt(0)
	ds_store_b32 v37, v63
	ds_store_b32 v35, v64 offset:1024
	v_lshlrev_b32_e32 v35, 2, v39
	v_lshlrev_b32_e32 v37, 2, v51
	;; [unrolled: 1-line block ×3, first 2 shown]
	ds_store_b32 v49, v66 offset:2048
	ds_store_b32 v52, v68 offset:3072
	ds_store_b32 v35, v69 offset:4096
	ds_store_b32 v37, v36 offset:5120
	v_lshlrev_b32_e32 v35, 2, v54
	v_lshlrev_b32_e32 v36, 2, v56
	;; [unrolled: 1-line block ×3, first 2 shown]
	ds_store_b32 v39, v38 offset:6144
	v_lshlrev_b32_e32 v38, 2, v58
	ds_store_b32 v35, v40 offset:7168
	ds_store_b32 v36, v41 offset:8192
	v_lshlrev_b32_e32 v35, 2, v57
	v_lshlrev_b32_e32 v36, 2, v59
	ds_store_b32 v37, v42 offset:9216
	ds_store_b32 v38, v43 offset:10240
	v_lshlrev_b32_e32 v37, 2, v61
	s_mov_b32 s6, 0
	ds_store_b32 v35, v44 offset:11264
	ds_store_b32 v36, v45 offset:12288
	;; [unrolled: 1-line block ×3, first 2 shown]
	v_mov_b32_e32 v35, 0
	v_mov_b32_e32 v36, 0
	v_lshlrev_b32_e32 v38, 2, v60
	v_lshlrev_b32_e32 v39, 2, v62
	ds_store_b32 v38, v47 offset:14336
	ds_store_b32 v39, v48 offset:15360
	v_mov_b32_e32 v48, v36
	v_mov_b32_e32 v42, v36
	;; [unrolled: 1-line block ×3, first 2 shown]
	v_dual_mov_b32 v46, v36 :: v_dual_mov_b32 v41, v35
	v_dual_mov_b32 v50, v36 :: v_dual_mov_b32 v43, v35
	;; [unrolled: 1-line block ×4, first 2 shown]
	v_mov_b32_e32 v56, v36
	v_mov_b32_e32 v38, v36
	v_dual_mov_b32 v40, v36 :: v_dual_mov_b32 v49, v35
	v_dual_mov_b32 v58, v36 :: v_dual_mov_b32 v51, v35
	v_dual_mov_b32 v60, v36 :: v_dual_mov_b32 v53, v35
	v_dual_mov_b32 v62, v36 :: v_dual_mov_b32 v55, v35
	v_dual_mov_b32 v64, v36 :: v_dual_mov_b32 v37, v35
	v_mov_b32_e32 v39, v35
	v_mov_b32_e32 v57, v35
	;; [unrolled: 1-line block ×5, first 2 shown]
	s_mov_b64 s[4:5], 0
	s_mov_b32 s1, 0
	s_waitcnt lgkmcnt(0)
	s_barrier
	buffer_gl0_inv
                                        ; implicit-def: $sgpr0
                                        ; implicit-def: $vgpr66
	s_and_saveexec_b32 s7, vcc_lo
	s_cbranch_execz .LBB21_162
; %bb.133:
	v_lshlrev_b32_e32 v67, 2, v67
	v_mov_b32_e32 v37, 0
	v_mov_b32_e32 v38, 0
	v_cmp_ne_u64_e32 vcc_lo, v[33:34], v[29:30]
	v_or_b32_e32 v39, 1, v65
	ds_load_b32 v35, v67
                                        ; implicit-def: $sgpr0
                                        ; implicit-def: $vgpr66
	v_dual_mov_b32 v42, v38 :: v_dual_mov_b32 v41, v37
	v_cndmask_b32_e64 v36, 0, 1, vcc_lo
	v_cmp_gt_u32_e32 vcc_lo, s52, v39
	v_dual_mov_b32 v40, v38 :: v_dual_mov_b32 v39, v37
	v_dual_mov_b32 v44, v38 :: v_dual_mov_b32 v43, v37
	;; [unrolled: 1-line block ×12, first 2 shown]
	s_and_saveexec_b32 s8, vcc_lo
	s_cbranch_execz .LBB21_161
; %bb.134:
	ds_load_2addr_b32 v[33:34], v67 offset0:1 offset1:2
	v_mov_b32_e32 v39, 0
	v_cmp_ne_u64_e32 vcc_lo, v[29:30], v[31:32]
	v_or_b32_e32 v37, 2, v65
	v_mov_b32_e32 v40, 0
                                        ; implicit-def: $sgpr0
                                        ; implicit-def: $vgpr66
	v_cndmask_b32_e64 v38, 0, 1, vcc_lo
	s_delay_alu instid0(VALU_DEP_3) | instskip(SKIP_1) | instid1(VALU_DEP_3)
	v_cmp_gt_u32_e32 vcc_lo, s52, v37
	s_waitcnt lgkmcnt(0)
	v_dual_mov_b32 v37, v33 :: v_dual_mov_b32 v42, v40
	v_dual_mov_b32 v41, v39 :: v_dual_mov_b32 v44, v40
	;; [unrolled: 1-line block ×12, first 2 shown]
	v_mov_b32_e32 v63, v39
	s_and_saveexec_b32 s9, vcc_lo
	s_cbranch_execz .LBB21_160
; %bb.135:
	v_mov_b32_e32 v41, 0
	v_cmp_ne_u64_e32 vcc_lo, v[31:32], v[25:26]
	v_dual_mov_b32 v42, 0 :: v_dual_mov_b32 v39, v34
	v_or_b32_e32 v29, 3, v65
	s_mov_b32 s10, exec_lo
                                        ; implicit-def: $sgpr0
                                        ; implicit-def: $vgpr66
	v_cndmask_b32_e64 v40, 0, 1, vcc_lo
	s_delay_alu instid0(VALU_DEP_3)
	v_dual_mov_b32 v44, v42 :: v_dual_mov_b32 v43, v41
	v_dual_mov_b32 v46, v42 :: v_dual_mov_b32 v45, v41
	;; [unrolled: 1-line block ×11, first 2 shown]
	v_cmpx_gt_u32_e64 s52, v29
	s_cbranch_execz .LBB21_159
; %bb.136:
	ds_load_2addr_b32 v[29:30], v67 offset0:3 offset1:4
	v_mov_b32_e32 v43, 0
	v_cmp_ne_u64_e32 vcc_lo, v[25:26], v[27:28]
	v_mov_b32_e32 v44, 0
	v_or_b32_e32 v31, 4, v65
	s_mov_b32 s11, exec_lo
                                        ; implicit-def: $sgpr0
                                        ; implicit-def: $vgpr66
	v_cndmask_b32_e64 v42, 0, 1, vcc_lo
	s_waitcnt lgkmcnt(0)
	v_dual_mov_b32 v41, v29 :: v_dual_mov_b32 v46, v44
	v_dual_mov_b32 v45, v43 :: v_dual_mov_b32 v48, v44
	;; [unrolled: 1-line block ×10, first 2 shown]
	v_mov_b32_e32 v63, v43
	v_cmpx_gt_u32_e64 s52, v31
	s_cbranch_execz .LBB21_158
; %bb.137:
	v_mov_b32_e32 v45, 0
	v_cmp_ne_u64_e32 vcc_lo, v[27:28], v[21:22]
	v_dual_mov_b32 v46, 0 :: v_dual_mov_b32 v43, v30
	v_or_b32_e32 v25, 5, v65
	s_mov_b32 s12, exec_lo
                                        ; implicit-def: $sgpr0
                                        ; implicit-def: $vgpr66
	v_cndmask_b32_e64 v44, 0, 1, vcc_lo
	s_delay_alu instid0(VALU_DEP_3)
	v_dual_mov_b32 v48, v46 :: v_dual_mov_b32 v47, v45
	v_dual_mov_b32 v50, v46 :: v_dual_mov_b32 v49, v45
	;; [unrolled: 1-line block ×9, first 2 shown]
	v_cmpx_gt_u32_e64 s52, v25
	s_cbranch_execz .LBB21_157
; %bb.138:
	ds_load_2addr_b32 v[25:26], v67 offset0:5 offset1:6
	v_mov_b32_e32 v47, 0
	v_cmp_ne_u64_e32 vcc_lo, v[21:22], v[23:24]
	v_mov_b32_e32 v48, 0
	v_or_b32_e32 v27, 6, v65
	s_mov_b32 s13, exec_lo
                                        ; implicit-def: $sgpr0
                                        ; implicit-def: $vgpr66
	v_cndmask_b32_e64 v46, 0, 1, vcc_lo
	s_waitcnt lgkmcnt(0)
	v_dual_mov_b32 v45, v25 :: v_dual_mov_b32 v50, v48
	v_dual_mov_b32 v49, v47 :: v_dual_mov_b32 v52, v48
	;; [unrolled: 1-line block ×8, first 2 shown]
	v_mov_b32_e32 v63, v47
	v_cmpx_gt_u32_e64 s52, v27
	s_cbranch_execz .LBB21_156
; %bb.139:
	v_mov_b32_e32 v49, 0
	v_cmp_ne_u64_e32 vcc_lo, v[23:24], v[17:18]
	v_dual_mov_b32 v50, 0 :: v_dual_mov_b32 v47, v26
	v_or_b32_e32 v21, 7, v65
	s_mov_b32 s14, exec_lo
                                        ; implicit-def: $sgpr0
                                        ; implicit-def: $vgpr66
	v_cndmask_b32_e64 v48, 0, 1, vcc_lo
	s_delay_alu instid0(VALU_DEP_3)
	v_dual_mov_b32 v52, v50 :: v_dual_mov_b32 v51, v49
	v_dual_mov_b32 v54, v50 :: v_dual_mov_b32 v53, v49
	;; [unrolled: 1-line block ×7, first 2 shown]
	v_cmpx_gt_u32_e64 s52, v21
	s_cbranch_execz .LBB21_155
; %bb.140:
	ds_load_2addr_b32 v[21:22], v67 offset0:7 offset1:8
	v_mov_b32_e32 v51, 0
	v_cmp_ne_u64_e32 vcc_lo, v[17:18], v[19:20]
	v_mov_b32_e32 v52, 0
	v_or_b32_e32 v23, 8, v65
	s_mov_b32 s15, exec_lo
                                        ; implicit-def: $sgpr0
                                        ; implicit-def: $vgpr66
	v_cndmask_b32_e64 v50, 0, 1, vcc_lo
	s_waitcnt lgkmcnt(0)
	v_dual_mov_b32 v49, v21 :: v_dual_mov_b32 v54, v52
	v_dual_mov_b32 v53, v51 :: v_dual_mov_b32 v56, v52
	;; [unrolled: 1-line block ×6, first 2 shown]
	v_mov_b32_e32 v63, v51
	v_cmpx_gt_u32_e64 s52, v23
	s_cbranch_execz .LBB21_154
; %bb.141:
	v_mov_b32_e32 v53, 0
	v_cmp_ne_u64_e32 vcc_lo, v[19:20], v[13:14]
	v_dual_mov_b32 v54, 0 :: v_dual_mov_b32 v51, v22
	v_or_b32_e32 v17, 9, v65
	s_mov_b32 s16, exec_lo
                                        ; implicit-def: $sgpr0
                                        ; implicit-def: $vgpr66
	v_cndmask_b32_e64 v52, 0, 1, vcc_lo
	s_delay_alu instid0(VALU_DEP_3)
	v_dual_mov_b32 v56, v54 :: v_dual_mov_b32 v55, v53
	v_dual_mov_b32 v58, v54 :: v_dual_mov_b32 v57, v53
	;; [unrolled: 1-line block ×5, first 2 shown]
	v_cmpx_gt_u32_e64 s52, v17
	s_cbranch_execz .LBB21_153
; %bb.142:
	ds_load_2addr_b32 v[17:18], v67 offset0:9 offset1:10
	v_mov_b32_e32 v55, 0
	v_cmp_ne_u64_e32 vcc_lo, v[13:14], v[15:16]
	v_mov_b32_e32 v56, 0
	v_or_b32_e32 v19, 10, v65
	s_mov_b32 s17, exec_lo
                                        ; implicit-def: $sgpr0
                                        ; implicit-def: $vgpr66
	v_cndmask_b32_e64 v54, 0, 1, vcc_lo
	s_waitcnt lgkmcnt(0)
	v_dual_mov_b32 v53, v17 :: v_dual_mov_b32 v58, v56
	v_dual_mov_b32 v57, v55 :: v_dual_mov_b32 v60, v56
	;; [unrolled: 1-line block ×4, first 2 shown]
	v_mov_b32_e32 v63, v55
	v_cmpx_gt_u32_e64 s52, v19
	s_cbranch_execz .LBB21_152
; %bb.143:
	v_mov_b32_e32 v57, 0
	v_cmp_ne_u64_e32 vcc_lo, v[15:16], v[9:10]
	v_dual_mov_b32 v58, 0 :: v_dual_mov_b32 v55, v18
	v_or_b32_e32 v13, 11, v65
	s_mov_b32 s18, exec_lo
                                        ; implicit-def: $sgpr0
                                        ; implicit-def: $vgpr66
	v_cndmask_b32_e64 v56, 0, 1, vcc_lo
	s_delay_alu instid0(VALU_DEP_3)
	v_dual_mov_b32 v60, v58 :: v_dual_mov_b32 v59, v57
	v_dual_mov_b32 v62, v58 :: v_dual_mov_b32 v61, v57
	;; [unrolled: 1-line block ×3, first 2 shown]
	v_cmpx_gt_u32_e64 s52, v13
	s_cbranch_execz .LBB21_151
; %bb.144:
	ds_load_2addr_b32 v[13:14], v67 offset0:11 offset1:12
	v_mov_b32_e32 v59, 0
	v_cmp_ne_u64_e32 vcc_lo, v[9:10], v[11:12]
	v_mov_b32_e32 v60, 0
	v_or_b32_e32 v15, 12, v65
	s_mov_b32 s19, exec_lo
                                        ; implicit-def: $sgpr0
                                        ; implicit-def: $vgpr66
	v_cndmask_b32_e64 v58, 0, 1, vcc_lo
	s_waitcnt lgkmcnt(0)
	v_dual_mov_b32 v57, v13 :: v_dual_mov_b32 v62, v60
	v_dual_mov_b32 v61, v59 :: v_dual_mov_b32 v64, v60
	v_mov_b32_e32 v63, v59
	v_cmpx_gt_u32_e64 s52, v15
	s_cbranch_execz .LBB21_150
; %bb.145:
	v_mov_b32_e32 v61, 0
	v_cmp_ne_u64_e32 vcc_lo, v[11:12], v[1:2]
	v_dual_mov_b32 v62, 0 :: v_dual_mov_b32 v59, v14
	v_or_b32_e32 v9, 13, v65
	s_mov_b32 s46, exec_lo
                                        ; implicit-def: $sgpr47
                                        ; implicit-def: $vgpr66
	v_cndmask_b32_e64 v60, 0, 1, vcc_lo
	s_delay_alu instid0(VALU_DEP_3) | instskip(NEXT) | instid1(VALU_DEP_3)
	v_dual_mov_b32 v64, v62 :: v_dual_mov_b32 v63, v61
	v_cmpx_gt_u32_e64 s52, v9
	s_cbranch_execz .LBB21_149
; %bb.146:
	ds_load_2addr_b32 v[9:10], v67 offset0:13 offset1:14
	v_cmp_ne_u64_e32 vcc_lo, v[1:2], v[3:4]
	v_mov_b32_e32 v63, 0
	v_or_b32_e32 v11, 14, v65
	v_mov_b32_e32 v64, 0
	s_mov_b32 s0, 0
	s_mov_b32 s47, exec_lo
	v_cndmask_b32_e64 v62, 0, 1, vcc_lo
                                        ; implicit-def: $sgpr1
                                        ; implicit-def: $vgpr66
	s_waitcnt lgkmcnt(0)
	v_mov_b32_e32 v61, v9
	v_cmpx_gt_u32_e64 s52, v11
	s_xor_b32 s47, exec_lo, s47
	s_cbranch_execz .LBB21_148
; %bb.147:
	ds_load_b32 v66, v67 offset:60
	v_or_b32_e32 v1, 15, v65
	v_cmp_ne_u64_e64 s1, v[3:4], v[5:6]
	v_cmp_ne_u64_e32 vcc_lo, v[5:6], v[7:8]
	v_mov_b32_e32 v63, v10
	s_delay_alu instid0(VALU_DEP_4) | instskip(NEXT) | instid1(VALU_DEP_4)
	v_cmp_gt_u32_e64 s0, s52, v1
	v_cndmask_b32_e64 v64, 0, 1, s1
	s_and_b32 s1, vcc_lo, exec_lo
	s_delay_alu instid0(VALU_DEP_2)
	s_and_b32 s0, s0, exec_lo
.LBB21_148:
	s_or_b32 exec_lo, exec_lo, s47
	s_delay_alu instid0(SALU_CYCLE_1)
	s_and_b32 s47, s1, exec_lo
	s_and_b32 s1, s0, exec_lo
.LBB21_149:
	s_or_b32 exec_lo, exec_lo, s46
	s_delay_alu instid0(SALU_CYCLE_1)
	s_and_b32 s0, s47, exec_lo
	s_and_b32 s1, s1, exec_lo
.LBB21_150:
	s_or_b32 exec_lo, exec_lo, s19
	s_delay_alu instid0(SALU_CYCLE_1)
	s_and_b32 s0, s0, exec_lo
	s_and_b32 s1, s1, exec_lo
.LBB21_151:
	s_or_b32 exec_lo, exec_lo, s18
	s_delay_alu instid0(SALU_CYCLE_1)
	s_and_b32 s0, s0, exec_lo
	s_and_b32 s1, s1, exec_lo
.LBB21_152:
	s_or_b32 exec_lo, exec_lo, s17
	s_delay_alu instid0(SALU_CYCLE_1)
	s_and_b32 s0, s0, exec_lo
	s_and_b32 s1, s1, exec_lo
.LBB21_153:
	s_or_b32 exec_lo, exec_lo, s16
	s_delay_alu instid0(SALU_CYCLE_1)
	s_and_b32 s0, s0, exec_lo
	s_and_b32 s1, s1, exec_lo
.LBB21_154:
	s_or_b32 exec_lo, exec_lo, s15
	s_delay_alu instid0(SALU_CYCLE_1)
	s_and_b32 s0, s0, exec_lo
	s_and_b32 s1, s1, exec_lo
.LBB21_155:
	s_or_b32 exec_lo, exec_lo, s14
	s_delay_alu instid0(SALU_CYCLE_1)
	s_and_b32 s0, s0, exec_lo
	s_and_b32 s1, s1, exec_lo
.LBB21_156:
	s_or_b32 exec_lo, exec_lo, s13
	s_delay_alu instid0(SALU_CYCLE_1)
	s_and_b32 s0, s0, exec_lo
	s_and_b32 s1, s1, exec_lo
.LBB21_157:
	s_or_b32 exec_lo, exec_lo, s12
	s_delay_alu instid0(SALU_CYCLE_1)
	s_and_b32 s0, s0, exec_lo
	s_and_b32 s1, s1, exec_lo
.LBB21_158:
	s_or_b32 exec_lo, exec_lo, s11
	s_delay_alu instid0(SALU_CYCLE_1)
	s_and_b32 s0, s0, exec_lo
	s_and_b32 s1, s1, exec_lo
.LBB21_159:
	s_or_b32 exec_lo, exec_lo, s10
	s_delay_alu instid0(SALU_CYCLE_1)
	s_and_b32 s0, s0, exec_lo
	s_and_b32 s1, s1, exec_lo
.LBB21_160:
	s_or_b32 exec_lo, exec_lo, s9
	s_delay_alu instid0(SALU_CYCLE_1)
	s_and_b32 s0, s0, exec_lo
	s_and_b32 s1, s1, exec_lo
.LBB21_161:
	s_or_b32 exec_lo, exec_lo, s8
	s_delay_alu instid0(SALU_CYCLE_1)
	s_and_b32 s0, s0, exec_lo
	s_and_b32 s1, s1, exec_lo
.LBB21_162:
	s_or_b32 exec_lo, exec_lo, s7
	s_delay_alu instid0(SALU_CYCLE_1)
	s_and_b32 vcc_lo, exec_lo, s6
	s_cbranch_vccz .LBB21_257
.LBB21_163:
	v_add_co_u32 v31, s0, s40, v0
	s_delay_alu instid0(VALU_DEP_1) | instskip(SKIP_1) | instid1(VALU_DEP_2)
	v_add_co_ci_u32_e64 v32, null, s41, 0, s0
	v_mov_b32_e32 v1, 0
	v_or_b32_e32 v2, s39, v32
	s_delay_alu instid0(VALU_DEP_1) | instskip(SKIP_1) | instid1(SALU_CYCLE_1)
	v_cmp_ne_u64_e32 vcc_lo, 0, v[1:2]
                                        ; implicit-def: $vgpr1_vgpr2
	s_and_saveexec_b32 s0, vcc_lo
	s_xor_b32 s1, exec_lo, s0
	s_cbranch_execz .LBB21_165
; %bb.164:
	v_cvt_f32_u32_e32 v1, s38
	v_cvt_f32_u32_e32 v2, s39
	s_sub_u32 s0, 0, s38
	s_subb_u32 s4, 0, s39
	s_delay_alu instid0(VALU_DEP_1) | instskip(NEXT) | instid1(VALU_DEP_1)
	v_fmamk_f32 v1, v2, 0x4f800000, v1
	v_rcp_f32_e32 v1, v1
	s_waitcnt_depctr 0xfff
	v_mul_f32_e32 v1, 0x5f7ffffc, v1
	s_delay_alu instid0(VALU_DEP_1) | instskip(NEXT) | instid1(VALU_DEP_1)
	v_mul_f32_e32 v2, 0x2f800000, v1
	v_trunc_f32_e32 v2, v2
	s_delay_alu instid0(VALU_DEP_1) | instskip(SKIP_1) | instid1(VALU_DEP_2)
	v_fmamk_f32 v1, v2, 0xcf800000, v1
	v_cvt_u32_f32_e32 v2, v2
	v_cvt_u32_f32_e32 v1, v1
	s_delay_alu instid0(VALU_DEP_2) | instskip(NEXT) | instid1(VALU_DEP_2)
	v_mul_lo_u32 v3, s0, v2
	v_mul_hi_u32 v4, s0, v1
	v_mul_lo_u32 v5, s4, v1
	s_delay_alu instid0(VALU_DEP_2) | instskip(SKIP_1) | instid1(VALU_DEP_2)
	v_add_nc_u32_e32 v3, v4, v3
	v_mul_lo_u32 v4, s0, v1
	v_add_nc_u32_e32 v3, v3, v5
	s_delay_alu instid0(VALU_DEP_2) | instskip(NEXT) | instid1(VALU_DEP_2)
	v_mul_hi_u32 v5, v1, v4
	v_mul_lo_u32 v6, v1, v3
	v_mul_hi_u32 v7, v1, v3
	v_mul_hi_u32 v8, v2, v4
	v_mul_lo_u32 v4, v2, v4
	v_mul_hi_u32 v9, v2, v3
	v_mul_lo_u32 v3, v2, v3
	v_add_co_u32 v5, vcc_lo, v5, v6
	v_add_co_ci_u32_e32 v6, vcc_lo, 0, v7, vcc_lo
	s_delay_alu instid0(VALU_DEP_2) | instskip(NEXT) | instid1(VALU_DEP_2)
	v_add_co_u32 v4, vcc_lo, v5, v4
	v_add_co_ci_u32_e32 v4, vcc_lo, v6, v8, vcc_lo
	v_add_co_ci_u32_e32 v5, vcc_lo, 0, v9, vcc_lo
	s_delay_alu instid0(VALU_DEP_2) | instskip(NEXT) | instid1(VALU_DEP_2)
	v_add_co_u32 v3, vcc_lo, v4, v3
	v_add_co_ci_u32_e32 v4, vcc_lo, 0, v5, vcc_lo
	s_delay_alu instid0(VALU_DEP_2) | instskip(NEXT) | instid1(VALU_DEP_2)
	v_add_co_u32 v1, vcc_lo, v1, v3
	v_add_co_ci_u32_e32 v2, vcc_lo, v2, v4, vcc_lo
	s_delay_alu instid0(VALU_DEP_2) | instskip(SKIP_1) | instid1(VALU_DEP_3)
	v_mul_hi_u32 v3, s0, v1
	v_mul_lo_u32 v5, s4, v1
	v_mul_lo_u32 v4, s0, v2
	s_delay_alu instid0(VALU_DEP_1) | instskip(SKIP_1) | instid1(VALU_DEP_2)
	v_add_nc_u32_e32 v3, v3, v4
	v_mul_lo_u32 v4, s0, v1
	v_add_nc_u32_e32 v3, v3, v5
	s_delay_alu instid0(VALU_DEP_2) | instskip(NEXT) | instid1(VALU_DEP_2)
	v_mul_hi_u32 v5, v1, v4
	v_mul_lo_u32 v6, v1, v3
	v_mul_hi_u32 v7, v1, v3
	v_mul_hi_u32 v8, v2, v4
	v_mul_lo_u32 v4, v2, v4
	v_mul_hi_u32 v9, v2, v3
	v_mul_lo_u32 v3, v2, v3
	v_add_co_u32 v5, vcc_lo, v5, v6
	v_add_co_ci_u32_e32 v6, vcc_lo, 0, v7, vcc_lo
	s_delay_alu instid0(VALU_DEP_2) | instskip(NEXT) | instid1(VALU_DEP_2)
	v_add_co_u32 v4, vcc_lo, v5, v4
	v_add_co_ci_u32_e32 v4, vcc_lo, v6, v8, vcc_lo
	v_add_co_ci_u32_e32 v5, vcc_lo, 0, v9, vcc_lo
	s_delay_alu instid0(VALU_DEP_2) | instskip(NEXT) | instid1(VALU_DEP_2)
	v_add_co_u32 v3, vcc_lo, v4, v3
	v_add_co_ci_u32_e32 v4, vcc_lo, 0, v5, vcc_lo
	s_delay_alu instid0(VALU_DEP_2) | instskip(NEXT) | instid1(VALU_DEP_2)
	v_add_co_u32 v5, vcc_lo, v1, v3
	v_add_co_ci_u32_e32 v7, vcc_lo, v2, v4, vcc_lo
	s_delay_alu instid0(VALU_DEP_2) | instskip(SKIP_1) | instid1(VALU_DEP_3)
	v_mul_hi_u32 v8, v31, v5
	v_mad_u64_u32 v[3:4], null, v32, v5, 0
	v_mad_u64_u32 v[1:2], null, v31, v7, 0
	;; [unrolled: 1-line block ×3, first 2 shown]
	s_delay_alu instid0(VALU_DEP_2) | instskip(NEXT) | instid1(VALU_DEP_3)
	v_add_co_u32 v1, vcc_lo, v8, v1
	v_add_co_ci_u32_e32 v2, vcc_lo, 0, v2, vcc_lo
	s_delay_alu instid0(VALU_DEP_2) | instskip(NEXT) | instid1(VALU_DEP_2)
	v_add_co_u32 v1, vcc_lo, v1, v3
	v_add_co_ci_u32_e32 v1, vcc_lo, v2, v4, vcc_lo
	v_add_co_ci_u32_e32 v2, vcc_lo, 0, v6, vcc_lo
	s_delay_alu instid0(VALU_DEP_2) | instskip(NEXT) | instid1(VALU_DEP_2)
	v_add_co_u32 v3, vcc_lo, v1, v5
	v_add_co_ci_u32_e32 v4, vcc_lo, 0, v2, vcc_lo
	s_delay_alu instid0(VALU_DEP_2) | instskip(SKIP_1) | instid1(VALU_DEP_3)
	v_mul_lo_u32 v5, s39, v3
	v_mad_u64_u32 v[1:2], null, s38, v3, 0
	v_mul_lo_u32 v6, s38, v4
	s_delay_alu instid0(VALU_DEP_2) | instskip(NEXT) | instid1(VALU_DEP_2)
	v_sub_co_u32 v1, vcc_lo, v31, v1
	v_add3_u32 v2, v2, v6, v5
	s_delay_alu instid0(VALU_DEP_1) | instskip(NEXT) | instid1(VALU_DEP_1)
	v_sub_nc_u32_e32 v5, v32, v2
	v_subrev_co_ci_u32_e64 v5, s0, s39, v5, vcc_lo
	v_add_co_u32 v6, s0, v3, 2
	s_delay_alu instid0(VALU_DEP_1) | instskip(SKIP_3) | instid1(VALU_DEP_3)
	v_add_co_ci_u32_e64 v7, s0, 0, v4, s0
	v_sub_co_u32 v8, s0, v1, s38
	v_sub_co_ci_u32_e32 v2, vcc_lo, v32, v2, vcc_lo
	v_subrev_co_ci_u32_e64 v5, s0, 0, v5, s0
	v_cmp_le_u32_e32 vcc_lo, s38, v8
	s_delay_alu instid0(VALU_DEP_3) | instskip(SKIP_1) | instid1(VALU_DEP_4)
	v_cmp_eq_u32_e64 s0, s39, v2
	v_cndmask_b32_e64 v8, 0, -1, vcc_lo
	v_cmp_le_u32_e32 vcc_lo, s39, v5
	v_cndmask_b32_e64 v9, 0, -1, vcc_lo
	v_cmp_le_u32_e32 vcc_lo, s38, v1
	;; [unrolled: 2-line block ×3, first 2 shown]
	v_cndmask_b32_e64 v10, 0, -1, vcc_lo
	v_cmp_eq_u32_e32 vcc_lo, s39, v5
	s_delay_alu instid0(VALU_DEP_2) | instskip(SKIP_3) | instid1(VALU_DEP_3)
	v_cndmask_b32_e64 v1, v10, v1, s0
	v_cndmask_b32_e32 v5, v9, v8, vcc_lo
	v_add_co_u32 v8, vcc_lo, v3, 1
	v_add_co_ci_u32_e32 v9, vcc_lo, 0, v4, vcc_lo
	v_cmp_ne_u32_e32 vcc_lo, 0, v5
	s_delay_alu instid0(VALU_DEP_2) | instskip(SKIP_1) | instid1(VALU_DEP_2)
	v_dual_cndmask_b32 v2, v9, v7 :: v_dual_cndmask_b32 v5, v8, v6
	v_cmp_ne_u32_e32 vcc_lo, 0, v1
	v_dual_cndmask_b32 v2, v4, v2 :: v_dual_cndmask_b32 v1, v3, v5
.LBB21_165:
	s_and_not1_saveexec_b32 s0, s1
	s_cbranch_execz .LBB21_167
; %bb.166:
	v_cvt_f32_u32_e32 v1, s38
	s_sub_i32 s1, 0, s38
	s_delay_alu instid0(VALU_DEP_1) | instskip(SKIP_2) | instid1(VALU_DEP_1)
	v_rcp_iflag_f32_e32 v1, v1
	s_waitcnt_depctr 0xfff
	v_mul_f32_e32 v1, 0x4f7ffffe, v1
	v_cvt_u32_f32_e32 v1, v1
	s_delay_alu instid0(VALU_DEP_1) | instskip(NEXT) | instid1(VALU_DEP_1)
	v_mul_lo_u32 v2, s1, v1
	v_mul_hi_u32 v2, v1, v2
	s_delay_alu instid0(VALU_DEP_1) | instskip(NEXT) | instid1(VALU_DEP_1)
	v_add_nc_u32_e32 v1, v1, v2
	v_mul_hi_u32 v1, v31, v1
	s_delay_alu instid0(VALU_DEP_1) | instskip(SKIP_1) | instid1(VALU_DEP_2)
	v_mul_lo_u32 v2, v1, s38
	v_add_nc_u32_e32 v3, 1, v1
	v_sub_nc_u32_e32 v2, v31, v2
	s_delay_alu instid0(VALU_DEP_1) | instskip(SKIP_1) | instid1(VALU_DEP_2)
	v_subrev_nc_u32_e32 v4, s38, v2
	v_cmp_le_u32_e32 vcc_lo, s38, v2
	v_dual_cndmask_b32 v2, v2, v4 :: v_dual_cndmask_b32 v1, v1, v3
	s_delay_alu instid0(VALU_DEP_1) | instskip(NEXT) | instid1(VALU_DEP_2)
	v_cmp_le_u32_e32 vcc_lo, s38, v2
	v_dual_mov_b32 v2, 0 :: v_dual_add_nc_u32 v3, 1, v1
	s_delay_alu instid0(VALU_DEP_1)
	v_cndmask_b32_e32 v1, v1, v3, vcc_lo
.LBB21_167:
	s_or_b32 exec_lo, exec_lo, s0
	v_add_co_u32 v5, vcc_lo, 0x100, v31
	v_add_co_ci_u32_e32 v6, vcc_lo, 0, v32, vcc_lo
	v_mov_b32_e32 v3, 0
	s_delay_alu instid0(VALU_DEP_2) | instskip(NEXT) | instid1(VALU_DEP_1)
	v_or_b32_e32 v4, s39, v6
	v_cmp_ne_u64_e32 vcc_lo, 0, v[3:4]
                                        ; implicit-def: $vgpr3_vgpr4
	s_and_saveexec_b32 s0, vcc_lo
	s_delay_alu instid0(SALU_CYCLE_1)
	s_xor_b32 s1, exec_lo, s0
	s_cbranch_execz .LBB21_169
; %bb.168:
	v_cvt_f32_u32_e32 v3, s38
	v_cvt_f32_u32_e32 v4, s39
	s_sub_u32 s0, 0, s38
	s_subb_u32 s4, 0, s39
	s_delay_alu instid0(VALU_DEP_1) | instskip(NEXT) | instid1(VALU_DEP_1)
	v_fmamk_f32 v3, v4, 0x4f800000, v3
	v_rcp_f32_e32 v3, v3
	s_waitcnt_depctr 0xfff
	v_mul_f32_e32 v3, 0x5f7ffffc, v3
	s_delay_alu instid0(VALU_DEP_1) | instskip(NEXT) | instid1(VALU_DEP_1)
	v_mul_f32_e32 v4, 0x2f800000, v3
	v_trunc_f32_e32 v4, v4
	s_delay_alu instid0(VALU_DEP_1) | instskip(SKIP_1) | instid1(VALU_DEP_2)
	v_fmamk_f32 v3, v4, 0xcf800000, v3
	v_cvt_u32_f32_e32 v4, v4
	v_cvt_u32_f32_e32 v3, v3
	s_delay_alu instid0(VALU_DEP_2) | instskip(NEXT) | instid1(VALU_DEP_2)
	v_mul_lo_u32 v7, s0, v4
	v_mul_hi_u32 v8, s0, v3
	v_mul_lo_u32 v9, s4, v3
	s_delay_alu instid0(VALU_DEP_2) | instskip(SKIP_1) | instid1(VALU_DEP_2)
	v_add_nc_u32_e32 v7, v8, v7
	v_mul_lo_u32 v8, s0, v3
	v_add_nc_u32_e32 v7, v7, v9
	s_delay_alu instid0(VALU_DEP_2) | instskip(NEXT) | instid1(VALU_DEP_2)
	v_mul_hi_u32 v9, v3, v8
	v_mul_lo_u32 v10, v3, v7
	v_mul_hi_u32 v11, v3, v7
	v_mul_hi_u32 v12, v4, v8
	v_mul_lo_u32 v8, v4, v8
	v_mul_hi_u32 v13, v4, v7
	v_mul_lo_u32 v7, v4, v7
	v_add_co_u32 v9, vcc_lo, v9, v10
	v_add_co_ci_u32_e32 v10, vcc_lo, 0, v11, vcc_lo
	s_delay_alu instid0(VALU_DEP_2) | instskip(NEXT) | instid1(VALU_DEP_2)
	v_add_co_u32 v8, vcc_lo, v9, v8
	v_add_co_ci_u32_e32 v8, vcc_lo, v10, v12, vcc_lo
	v_add_co_ci_u32_e32 v9, vcc_lo, 0, v13, vcc_lo
	s_delay_alu instid0(VALU_DEP_2) | instskip(NEXT) | instid1(VALU_DEP_2)
	v_add_co_u32 v7, vcc_lo, v8, v7
	v_add_co_ci_u32_e32 v8, vcc_lo, 0, v9, vcc_lo
	s_delay_alu instid0(VALU_DEP_2) | instskip(NEXT) | instid1(VALU_DEP_2)
	v_add_co_u32 v3, vcc_lo, v3, v7
	v_add_co_ci_u32_e32 v4, vcc_lo, v4, v8, vcc_lo
	s_delay_alu instid0(VALU_DEP_2) | instskip(SKIP_1) | instid1(VALU_DEP_3)
	v_mul_hi_u32 v7, s0, v3
	v_mul_lo_u32 v9, s4, v3
	v_mul_lo_u32 v8, s0, v4
	s_delay_alu instid0(VALU_DEP_1) | instskip(SKIP_1) | instid1(VALU_DEP_2)
	v_add_nc_u32_e32 v7, v7, v8
	v_mul_lo_u32 v8, s0, v3
	v_add_nc_u32_e32 v7, v7, v9
	s_delay_alu instid0(VALU_DEP_2) | instskip(NEXT) | instid1(VALU_DEP_2)
	v_mul_hi_u32 v9, v3, v8
	v_mul_lo_u32 v10, v3, v7
	v_mul_hi_u32 v11, v3, v7
	v_mul_hi_u32 v12, v4, v8
	v_mul_lo_u32 v8, v4, v8
	v_mul_hi_u32 v13, v4, v7
	v_mul_lo_u32 v7, v4, v7
	v_add_co_u32 v9, vcc_lo, v9, v10
	v_add_co_ci_u32_e32 v10, vcc_lo, 0, v11, vcc_lo
	s_delay_alu instid0(VALU_DEP_2) | instskip(NEXT) | instid1(VALU_DEP_2)
	v_add_co_u32 v8, vcc_lo, v9, v8
	v_add_co_ci_u32_e32 v8, vcc_lo, v10, v12, vcc_lo
	v_add_co_ci_u32_e32 v9, vcc_lo, 0, v13, vcc_lo
	s_delay_alu instid0(VALU_DEP_2) | instskip(NEXT) | instid1(VALU_DEP_2)
	v_add_co_u32 v7, vcc_lo, v8, v7
	v_add_co_ci_u32_e32 v8, vcc_lo, 0, v9, vcc_lo
	s_delay_alu instid0(VALU_DEP_2) | instskip(NEXT) | instid1(VALU_DEP_2)
	v_add_co_u32 v9, vcc_lo, v3, v7
	v_add_co_ci_u32_e32 v11, vcc_lo, v4, v8, vcc_lo
	s_delay_alu instid0(VALU_DEP_2) | instskip(SKIP_1) | instid1(VALU_DEP_3)
	v_mul_hi_u32 v12, v5, v9
	v_mad_u64_u32 v[7:8], null, v6, v9, 0
	v_mad_u64_u32 v[3:4], null, v5, v11, 0
	;; [unrolled: 1-line block ×3, first 2 shown]
	s_delay_alu instid0(VALU_DEP_2) | instskip(NEXT) | instid1(VALU_DEP_3)
	v_add_co_u32 v3, vcc_lo, v12, v3
	v_add_co_ci_u32_e32 v4, vcc_lo, 0, v4, vcc_lo
	s_delay_alu instid0(VALU_DEP_2) | instskip(NEXT) | instid1(VALU_DEP_2)
	v_add_co_u32 v3, vcc_lo, v3, v7
	v_add_co_ci_u32_e32 v3, vcc_lo, v4, v8, vcc_lo
	v_add_co_ci_u32_e32 v4, vcc_lo, 0, v10, vcc_lo
	s_delay_alu instid0(VALU_DEP_2) | instskip(NEXT) | instid1(VALU_DEP_2)
	v_add_co_u32 v7, vcc_lo, v3, v9
	v_add_co_ci_u32_e32 v8, vcc_lo, 0, v4, vcc_lo
	s_delay_alu instid0(VALU_DEP_2) | instskip(SKIP_1) | instid1(VALU_DEP_3)
	v_mul_lo_u32 v9, s39, v7
	v_mad_u64_u32 v[3:4], null, s38, v7, 0
	v_mul_lo_u32 v10, s38, v8
	s_delay_alu instid0(VALU_DEP_2) | instskip(NEXT) | instid1(VALU_DEP_2)
	v_sub_co_u32 v3, vcc_lo, v5, v3
	v_add3_u32 v4, v4, v10, v9
	s_delay_alu instid0(VALU_DEP_1) | instskip(NEXT) | instid1(VALU_DEP_1)
	v_sub_nc_u32_e32 v9, v6, v4
	v_subrev_co_ci_u32_e64 v5, s0, s39, v9, vcc_lo
	v_add_co_u32 v9, s0, v7, 2
	s_delay_alu instid0(VALU_DEP_1) | instskip(SKIP_3) | instid1(VALU_DEP_3)
	v_add_co_ci_u32_e64 v10, s0, 0, v8, s0
	v_sub_co_u32 v11, s0, v3, s38
	v_sub_co_ci_u32_e32 v4, vcc_lo, v6, v4, vcc_lo
	v_subrev_co_ci_u32_e64 v5, s0, 0, v5, s0
	v_cmp_le_u32_e32 vcc_lo, s38, v11
	s_delay_alu instid0(VALU_DEP_3) | instskip(SKIP_1) | instid1(VALU_DEP_4)
	v_cmp_eq_u32_e64 s0, s39, v4
	v_cndmask_b32_e64 v6, 0, -1, vcc_lo
	v_cmp_le_u32_e32 vcc_lo, s39, v5
	v_cndmask_b32_e64 v11, 0, -1, vcc_lo
	v_cmp_le_u32_e32 vcc_lo, s38, v3
	;; [unrolled: 2-line block ×3, first 2 shown]
	v_cndmask_b32_e64 v12, 0, -1, vcc_lo
	v_cmp_eq_u32_e32 vcc_lo, s39, v5
	s_delay_alu instid0(VALU_DEP_2) | instskip(SKIP_3) | instid1(VALU_DEP_3)
	v_cndmask_b32_e64 v3, v12, v3, s0
	v_cndmask_b32_e32 v5, v11, v6, vcc_lo
	v_add_co_u32 v6, vcc_lo, v7, 1
	v_add_co_ci_u32_e32 v11, vcc_lo, 0, v8, vcc_lo
	v_cmp_ne_u32_e32 vcc_lo, 0, v5
	s_delay_alu instid0(VALU_DEP_2) | instskip(SKIP_1) | instid1(VALU_DEP_2)
	v_dual_cndmask_b32 v4, v11, v10 :: v_dual_cndmask_b32 v5, v6, v9
	v_cmp_ne_u32_e32 vcc_lo, 0, v3
	v_dual_cndmask_b32 v4, v8, v4 :: v_dual_cndmask_b32 v3, v7, v5
                                        ; implicit-def: $vgpr5
.LBB21_169:
	s_and_not1_saveexec_b32 s0, s1
	s_cbranch_execz .LBB21_171
; %bb.170:
	v_cvt_f32_u32_e32 v3, s38
	s_sub_i32 s1, 0, s38
	s_delay_alu instid0(VALU_DEP_1) | instskip(SKIP_2) | instid1(VALU_DEP_1)
	v_rcp_iflag_f32_e32 v3, v3
	s_waitcnt_depctr 0xfff
	v_mul_f32_e32 v3, 0x4f7ffffe, v3
	v_cvt_u32_f32_e32 v3, v3
	s_delay_alu instid0(VALU_DEP_1) | instskip(NEXT) | instid1(VALU_DEP_1)
	v_mul_lo_u32 v4, s1, v3
	v_mul_hi_u32 v4, v3, v4
	s_delay_alu instid0(VALU_DEP_1) | instskip(NEXT) | instid1(VALU_DEP_1)
	v_add_nc_u32_e32 v3, v3, v4
	v_mul_hi_u32 v3, v5, v3
	s_delay_alu instid0(VALU_DEP_1) | instskip(NEXT) | instid1(VALU_DEP_1)
	v_mul_lo_u32 v4, v3, s38
	v_sub_nc_u32_e32 v4, v5, v4
	v_add_nc_u32_e32 v5, 1, v3
	s_delay_alu instid0(VALU_DEP_2) | instskip(SKIP_1) | instid1(VALU_DEP_2)
	v_subrev_nc_u32_e32 v6, s38, v4
	v_cmp_le_u32_e32 vcc_lo, s38, v4
	v_dual_cndmask_b32 v4, v4, v6 :: v_dual_cndmask_b32 v3, v3, v5
	s_delay_alu instid0(VALU_DEP_1) | instskip(NEXT) | instid1(VALU_DEP_2)
	v_cmp_le_u32_e32 vcc_lo, s38, v4
	v_dual_mov_b32 v4, 0 :: v_dual_add_nc_u32 v5, 1, v3
	s_delay_alu instid0(VALU_DEP_1)
	v_cndmask_b32_e32 v3, v3, v5, vcc_lo
.LBB21_171:
	s_or_b32 exec_lo, exec_lo, s0
	v_add_co_u32 v7, vcc_lo, 0x200, v31
	v_add_co_ci_u32_e32 v8, vcc_lo, 0, v32, vcc_lo
	v_mov_b32_e32 v5, 0
	s_delay_alu instid0(VALU_DEP_2) | instskip(NEXT) | instid1(VALU_DEP_1)
	v_or_b32_e32 v6, s39, v8
	v_cmp_ne_u64_e32 vcc_lo, 0, v[5:6]
                                        ; implicit-def: $vgpr5_vgpr6
	s_and_saveexec_b32 s0, vcc_lo
	s_delay_alu instid0(SALU_CYCLE_1)
	s_xor_b32 s1, exec_lo, s0
	s_cbranch_execz .LBB21_173
; %bb.172:
	v_cvt_f32_u32_e32 v5, s38
	v_cvt_f32_u32_e32 v6, s39
	s_sub_u32 s0, 0, s38
	s_subb_u32 s4, 0, s39
	s_delay_alu instid0(VALU_DEP_1) | instskip(NEXT) | instid1(VALU_DEP_1)
	v_fmamk_f32 v5, v6, 0x4f800000, v5
	v_rcp_f32_e32 v5, v5
	s_waitcnt_depctr 0xfff
	v_mul_f32_e32 v5, 0x5f7ffffc, v5
	s_delay_alu instid0(VALU_DEP_1) | instskip(NEXT) | instid1(VALU_DEP_1)
	v_mul_f32_e32 v6, 0x2f800000, v5
	v_trunc_f32_e32 v6, v6
	s_delay_alu instid0(VALU_DEP_1) | instskip(SKIP_1) | instid1(VALU_DEP_2)
	v_fmamk_f32 v5, v6, 0xcf800000, v5
	v_cvt_u32_f32_e32 v6, v6
	v_cvt_u32_f32_e32 v5, v5
	s_delay_alu instid0(VALU_DEP_2) | instskip(NEXT) | instid1(VALU_DEP_2)
	v_mul_lo_u32 v9, s0, v6
	v_mul_hi_u32 v10, s0, v5
	v_mul_lo_u32 v11, s4, v5
	s_delay_alu instid0(VALU_DEP_2) | instskip(SKIP_1) | instid1(VALU_DEP_2)
	v_add_nc_u32_e32 v9, v10, v9
	v_mul_lo_u32 v10, s0, v5
	v_add_nc_u32_e32 v9, v9, v11
	s_delay_alu instid0(VALU_DEP_2) | instskip(NEXT) | instid1(VALU_DEP_2)
	v_mul_hi_u32 v11, v5, v10
	v_mul_lo_u32 v12, v5, v9
	v_mul_hi_u32 v13, v5, v9
	v_mul_hi_u32 v14, v6, v10
	v_mul_lo_u32 v10, v6, v10
	v_mul_hi_u32 v15, v6, v9
	v_mul_lo_u32 v9, v6, v9
	v_add_co_u32 v11, vcc_lo, v11, v12
	v_add_co_ci_u32_e32 v12, vcc_lo, 0, v13, vcc_lo
	s_delay_alu instid0(VALU_DEP_2) | instskip(NEXT) | instid1(VALU_DEP_2)
	v_add_co_u32 v10, vcc_lo, v11, v10
	v_add_co_ci_u32_e32 v10, vcc_lo, v12, v14, vcc_lo
	v_add_co_ci_u32_e32 v11, vcc_lo, 0, v15, vcc_lo
	s_delay_alu instid0(VALU_DEP_2) | instskip(NEXT) | instid1(VALU_DEP_2)
	v_add_co_u32 v9, vcc_lo, v10, v9
	v_add_co_ci_u32_e32 v10, vcc_lo, 0, v11, vcc_lo
	s_delay_alu instid0(VALU_DEP_2) | instskip(NEXT) | instid1(VALU_DEP_2)
	v_add_co_u32 v5, vcc_lo, v5, v9
	v_add_co_ci_u32_e32 v6, vcc_lo, v6, v10, vcc_lo
	s_delay_alu instid0(VALU_DEP_2) | instskip(SKIP_1) | instid1(VALU_DEP_3)
	v_mul_hi_u32 v9, s0, v5
	v_mul_lo_u32 v11, s4, v5
	v_mul_lo_u32 v10, s0, v6
	s_delay_alu instid0(VALU_DEP_1) | instskip(SKIP_1) | instid1(VALU_DEP_2)
	v_add_nc_u32_e32 v9, v9, v10
	v_mul_lo_u32 v10, s0, v5
	v_add_nc_u32_e32 v9, v9, v11
	s_delay_alu instid0(VALU_DEP_2) | instskip(NEXT) | instid1(VALU_DEP_2)
	v_mul_hi_u32 v11, v5, v10
	v_mul_lo_u32 v12, v5, v9
	v_mul_hi_u32 v13, v5, v9
	v_mul_hi_u32 v14, v6, v10
	v_mul_lo_u32 v10, v6, v10
	v_mul_hi_u32 v15, v6, v9
	v_mul_lo_u32 v9, v6, v9
	v_add_co_u32 v11, vcc_lo, v11, v12
	v_add_co_ci_u32_e32 v12, vcc_lo, 0, v13, vcc_lo
	s_delay_alu instid0(VALU_DEP_2) | instskip(NEXT) | instid1(VALU_DEP_2)
	v_add_co_u32 v10, vcc_lo, v11, v10
	v_add_co_ci_u32_e32 v10, vcc_lo, v12, v14, vcc_lo
	v_add_co_ci_u32_e32 v11, vcc_lo, 0, v15, vcc_lo
	s_delay_alu instid0(VALU_DEP_2) | instskip(NEXT) | instid1(VALU_DEP_2)
	v_add_co_u32 v9, vcc_lo, v10, v9
	v_add_co_ci_u32_e32 v10, vcc_lo, 0, v11, vcc_lo
	s_delay_alu instid0(VALU_DEP_2) | instskip(NEXT) | instid1(VALU_DEP_2)
	v_add_co_u32 v11, vcc_lo, v5, v9
	v_add_co_ci_u32_e32 v13, vcc_lo, v6, v10, vcc_lo
	s_delay_alu instid0(VALU_DEP_2) | instskip(SKIP_1) | instid1(VALU_DEP_3)
	v_mul_hi_u32 v14, v7, v11
	v_mad_u64_u32 v[9:10], null, v8, v11, 0
	v_mad_u64_u32 v[5:6], null, v7, v13, 0
	;; [unrolled: 1-line block ×3, first 2 shown]
	s_delay_alu instid0(VALU_DEP_2) | instskip(NEXT) | instid1(VALU_DEP_3)
	v_add_co_u32 v5, vcc_lo, v14, v5
	v_add_co_ci_u32_e32 v6, vcc_lo, 0, v6, vcc_lo
	s_delay_alu instid0(VALU_DEP_2) | instskip(NEXT) | instid1(VALU_DEP_2)
	v_add_co_u32 v5, vcc_lo, v5, v9
	v_add_co_ci_u32_e32 v5, vcc_lo, v6, v10, vcc_lo
	v_add_co_ci_u32_e32 v6, vcc_lo, 0, v12, vcc_lo
	s_delay_alu instid0(VALU_DEP_2) | instskip(NEXT) | instid1(VALU_DEP_2)
	v_add_co_u32 v9, vcc_lo, v5, v11
	v_add_co_ci_u32_e32 v10, vcc_lo, 0, v6, vcc_lo
	s_delay_alu instid0(VALU_DEP_2) | instskip(SKIP_1) | instid1(VALU_DEP_3)
	v_mul_lo_u32 v11, s39, v9
	v_mad_u64_u32 v[5:6], null, s38, v9, 0
	v_mul_lo_u32 v12, s38, v10
	s_delay_alu instid0(VALU_DEP_2) | instskip(NEXT) | instid1(VALU_DEP_2)
	v_sub_co_u32 v5, vcc_lo, v7, v5
	v_add3_u32 v6, v6, v12, v11
	s_delay_alu instid0(VALU_DEP_1) | instskip(NEXT) | instid1(VALU_DEP_1)
	v_sub_nc_u32_e32 v11, v8, v6
	v_subrev_co_ci_u32_e64 v7, s0, s39, v11, vcc_lo
	v_add_co_u32 v11, s0, v9, 2
	s_delay_alu instid0(VALU_DEP_1) | instskip(SKIP_3) | instid1(VALU_DEP_3)
	v_add_co_ci_u32_e64 v12, s0, 0, v10, s0
	v_sub_co_u32 v13, s0, v5, s38
	v_sub_co_ci_u32_e32 v6, vcc_lo, v8, v6, vcc_lo
	v_subrev_co_ci_u32_e64 v7, s0, 0, v7, s0
	v_cmp_le_u32_e32 vcc_lo, s38, v13
	s_delay_alu instid0(VALU_DEP_3) | instskip(SKIP_1) | instid1(VALU_DEP_4)
	v_cmp_eq_u32_e64 s0, s39, v6
	v_cndmask_b32_e64 v8, 0, -1, vcc_lo
	v_cmp_le_u32_e32 vcc_lo, s39, v7
	v_cndmask_b32_e64 v13, 0, -1, vcc_lo
	v_cmp_le_u32_e32 vcc_lo, s38, v5
	;; [unrolled: 2-line block ×3, first 2 shown]
	v_cndmask_b32_e64 v14, 0, -1, vcc_lo
	v_cmp_eq_u32_e32 vcc_lo, s39, v7
	s_delay_alu instid0(VALU_DEP_2) | instskip(SKIP_3) | instid1(VALU_DEP_3)
	v_cndmask_b32_e64 v5, v14, v5, s0
	v_cndmask_b32_e32 v7, v13, v8, vcc_lo
	v_add_co_u32 v8, vcc_lo, v9, 1
	v_add_co_ci_u32_e32 v13, vcc_lo, 0, v10, vcc_lo
	v_cmp_ne_u32_e32 vcc_lo, 0, v7
	s_delay_alu instid0(VALU_DEP_2) | instskip(SKIP_1) | instid1(VALU_DEP_2)
	v_dual_cndmask_b32 v6, v13, v12 :: v_dual_cndmask_b32 v7, v8, v11
	v_cmp_ne_u32_e32 vcc_lo, 0, v5
	v_dual_cndmask_b32 v6, v10, v6 :: v_dual_cndmask_b32 v5, v9, v7
                                        ; implicit-def: $vgpr7
.LBB21_173:
	s_and_not1_saveexec_b32 s0, s1
	s_cbranch_execz .LBB21_175
; %bb.174:
	v_cvt_f32_u32_e32 v5, s38
	s_sub_i32 s1, 0, s38
	s_delay_alu instid0(VALU_DEP_1) | instskip(SKIP_2) | instid1(VALU_DEP_1)
	v_rcp_iflag_f32_e32 v5, v5
	s_waitcnt_depctr 0xfff
	v_mul_f32_e32 v5, 0x4f7ffffe, v5
	v_cvt_u32_f32_e32 v5, v5
	s_delay_alu instid0(VALU_DEP_1) | instskip(NEXT) | instid1(VALU_DEP_1)
	v_mul_lo_u32 v6, s1, v5
	v_mul_hi_u32 v6, v5, v6
	s_delay_alu instid0(VALU_DEP_1) | instskip(NEXT) | instid1(VALU_DEP_1)
	v_add_nc_u32_e32 v5, v5, v6
	v_mul_hi_u32 v5, v7, v5
	s_delay_alu instid0(VALU_DEP_1) | instskip(NEXT) | instid1(VALU_DEP_1)
	v_mul_lo_u32 v6, v5, s38
	v_sub_nc_u32_e32 v6, v7, v6
	v_add_nc_u32_e32 v7, 1, v5
	s_delay_alu instid0(VALU_DEP_2) | instskip(SKIP_1) | instid1(VALU_DEP_2)
	v_subrev_nc_u32_e32 v8, s38, v6
	v_cmp_le_u32_e32 vcc_lo, s38, v6
	v_dual_cndmask_b32 v6, v6, v8 :: v_dual_cndmask_b32 v5, v5, v7
	s_delay_alu instid0(VALU_DEP_1) | instskip(NEXT) | instid1(VALU_DEP_2)
	v_cmp_le_u32_e32 vcc_lo, s38, v6
	v_dual_mov_b32 v6, 0 :: v_dual_add_nc_u32 v7, 1, v5
	s_delay_alu instid0(VALU_DEP_1)
	v_cndmask_b32_e32 v5, v5, v7, vcc_lo
.LBB21_175:
	s_or_b32 exec_lo, exec_lo, s0
	v_add_co_u32 v9, vcc_lo, 0x300, v31
	v_add_co_ci_u32_e32 v10, vcc_lo, 0, v32, vcc_lo
	v_mov_b32_e32 v7, 0
	s_delay_alu instid0(VALU_DEP_2) | instskip(NEXT) | instid1(VALU_DEP_1)
	v_or_b32_e32 v8, s39, v10
	v_cmp_ne_u64_e32 vcc_lo, 0, v[7:8]
                                        ; implicit-def: $vgpr7_vgpr8
	s_and_saveexec_b32 s0, vcc_lo
	s_delay_alu instid0(SALU_CYCLE_1)
	s_xor_b32 s1, exec_lo, s0
	s_cbranch_execz .LBB21_177
; %bb.176:
	v_cvt_f32_u32_e32 v7, s38
	v_cvt_f32_u32_e32 v8, s39
	s_sub_u32 s0, 0, s38
	s_subb_u32 s4, 0, s39
	s_delay_alu instid0(VALU_DEP_1) | instskip(NEXT) | instid1(VALU_DEP_1)
	v_fmamk_f32 v7, v8, 0x4f800000, v7
	v_rcp_f32_e32 v7, v7
	s_waitcnt_depctr 0xfff
	v_mul_f32_e32 v7, 0x5f7ffffc, v7
	s_delay_alu instid0(VALU_DEP_1) | instskip(NEXT) | instid1(VALU_DEP_1)
	v_mul_f32_e32 v8, 0x2f800000, v7
	v_trunc_f32_e32 v8, v8
	s_delay_alu instid0(VALU_DEP_1) | instskip(SKIP_1) | instid1(VALU_DEP_2)
	v_fmamk_f32 v7, v8, 0xcf800000, v7
	v_cvt_u32_f32_e32 v8, v8
	v_cvt_u32_f32_e32 v7, v7
	s_delay_alu instid0(VALU_DEP_2) | instskip(NEXT) | instid1(VALU_DEP_2)
	v_mul_lo_u32 v11, s0, v8
	v_mul_hi_u32 v12, s0, v7
	v_mul_lo_u32 v13, s4, v7
	s_delay_alu instid0(VALU_DEP_2) | instskip(SKIP_1) | instid1(VALU_DEP_2)
	v_add_nc_u32_e32 v11, v12, v11
	v_mul_lo_u32 v12, s0, v7
	v_add_nc_u32_e32 v11, v11, v13
	s_delay_alu instid0(VALU_DEP_2) | instskip(NEXT) | instid1(VALU_DEP_2)
	v_mul_hi_u32 v13, v7, v12
	v_mul_lo_u32 v14, v7, v11
	v_mul_hi_u32 v15, v7, v11
	v_mul_hi_u32 v16, v8, v12
	v_mul_lo_u32 v12, v8, v12
	v_mul_hi_u32 v17, v8, v11
	v_mul_lo_u32 v11, v8, v11
	v_add_co_u32 v13, vcc_lo, v13, v14
	v_add_co_ci_u32_e32 v14, vcc_lo, 0, v15, vcc_lo
	s_delay_alu instid0(VALU_DEP_2) | instskip(NEXT) | instid1(VALU_DEP_2)
	v_add_co_u32 v12, vcc_lo, v13, v12
	v_add_co_ci_u32_e32 v12, vcc_lo, v14, v16, vcc_lo
	v_add_co_ci_u32_e32 v13, vcc_lo, 0, v17, vcc_lo
	s_delay_alu instid0(VALU_DEP_2) | instskip(NEXT) | instid1(VALU_DEP_2)
	v_add_co_u32 v11, vcc_lo, v12, v11
	v_add_co_ci_u32_e32 v12, vcc_lo, 0, v13, vcc_lo
	s_delay_alu instid0(VALU_DEP_2) | instskip(NEXT) | instid1(VALU_DEP_2)
	v_add_co_u32 v7, vcc_lo, v7, v11
	v_add_co_ci_u32_e32 v8, vcc_lo, v8, v12, vcc_lo
	s_delay_alu instid0(VALU_DEP_2) | instskip(SKIP_1) | instid1(VALU_DEP_3)
	v_mul_hi_u32 v11, s0, v7
	v_mul_lo_u32 v13, s4, v7
	v_mul_lo_u32 v12, s0, v8
	s_delay_alu instid0(VALU_DEP_1) | instskip(SKIP_1) | instid1(VALU_DEP_2)
	v_add_nc_u32_e32 v11, v11, v12
	v_mul_lo_u32 v12, s0, v7
	v_add_nc_u32_e32 v11, v11, v13
	s_delay_alu instid0(VALU_DEP_2) | instskip(NEXT) | instid1(VALU_DEP_2)
	v_mul_hi_u32 v13, v7, v12
	v_mul_lo_u32 v14, v7, v11
	v_mul_hi_u32 v15, v7, v11
	v_mul_hi_u32 v16, v8, v12
	v_mul_lo_u32 v12, v8, v12
	v_mul_hi_u32 v17, v8, v11
	v_mul_lo_u32 v11, v8, v11
	v_add_co_u32 v13, vcc_lo, v13, v14
	v_add_co_ci_u32_e32 v14, vcc_lo, 0, v15, vcc_lo
	s_delay_alu instid0(VALU_DEP_2) | instskip(NEXT) | instid1(VALU_DEP_2)
	v_add_co_u32 v12, vcc_lo, v13, v12
	v_add_co_ci_u32_e32 v12, vcc_lo, v14, v16, vcc_lo
	v_add_co_ci_u32_e32 v13, vcc_lo, 0, v17, vcc_lo
	s_delay_alu instid0(VALU_DEP_2) | instskip(NEXT) | instid1(VALU_DEP_2)
	v_add_co_u32 v11, vcc_lo, v12, v11
	v_add_co_ci_u32_e32 v12, vcc_lo, 0, v13, vcc_lo
	s_delay_alu instid0(VALU_DEP_2) | instskip(NEXT) | instid1(VALU_DEP_2)
	v_add_co_u32 v13, vcc_lo, v7, v11
	v_add_co_ci_u32_e32 v15, vcc_lo, v8, v12, vcc_lo
	s_delay_alu instid0(VALU_DEP_2) | instskip(SKIP_1) | instid1(VALU_DEP_3)
	v_mul_hi_u32 v16, v9, v13
	v_mad_u64_u32 v[11:12], null, v10, v13, 0
	v_mad_u64_u32 v[7:8], null, v9, v15, 0
	;; [unrolled: 1-line block ×3, first 2 shown]
	s_delay_alu instid0(VALU_DEP_2) | instskip(NEXT) | instid1(VALU_DEP_3)
	v_add_co_u32 v7, vcc_lo, v16, v7
	v_add_co_ci_u32_e32 v8, vcc_lo, 0, v8, vcc_lo
	s_delay_alu instid0(VALU_DEP_2) | instskip(NEXT) | instid1(VALU_DEP_2)
	v_add_co_u32 v7, vcc_lo, v7, v11
	v_add_co_ci_u32_e32 v7, vcc_lo, v8, v12, vcc_lo
	v_add_co_ci_u32_e32 v8, vcc_lo, 0, v14, vcc_lo
	s_delay_alu instid0(VALU_DEP_2) | instskip(NEXT) | instid1(VALU_DEP_2)
	v_add_co_u32 v11, vcc_lo, v7, v13
	v_add_co_ci_u32_e32 v12, vcc_lo, 0, v8, vcc_lo
	s_delay_alu instid0(VALU_DEP_2) | instskip(SKIP_1) | instid1(VALU_DEP_3)
	v_mul_lo_u32 v13, s39, v11
	v_mad_u64_u32 v[7:8], null, s38, v11, 0
	v_mul_lo_u32 v14, s38, v12
	s_delay_alu instid0(VALU_DEP_2) | instskip(NEXT) | instid1(VALU_DEP_2)
	v_sub_co_u32 v7, vcc_lo, v9, v7
	v_add3_u32 v8, v8, v14, v13
	s_delay_alu instid0(VALU_DEP_1) | instskip(NEXT) | instid1(VALU_DEP_1)
	v_sub_nc_u32_e32 v13, v10, v8
	v_subrev_co_ci_u32_e64 v9, s0, s39, v13, vcc_lo
	v_add_co_u32 v13, s0, v11, 2
	s_delay_alu instid0(VALU_DEP_1) | instskip(SKIP_3) | instid1(VALU_DEP_3)
	v_add_co_ci_u32_e64 v14, s0, 0, v12, s0
	v_sub_co_u32 v15, s0, v7, s38
	v_sub_co_ci_u32_e32 v8, vcc_lo, v10, v8, vcc_lo
	v_subrev_co_ci_u32_e64 v9, s0, 0, v9, s0
	v_cmp_le_u32_e32 vcc_lo, s38, v15
	s_delay_alu instid0(VALU_DEP_3) | instskip(SKIP_1) | instid1(VALU_DEP_4)
	v_cmp_eq_u32_e64 s0, s39, v8
	v_cndmask_b32_e64 v10, 0, -1, vcc_lo
	v_cmp_le_u32_e32 vcc_lo, s39, v9
	v_cndmask_b32_e64 v15, 0, -1, vcc_lo
	v_cmp_le_u32_e32 vcc_lo, s38, v7
	;; [unrolled: 2-line block ×3, first 2 shown]
	v_cndmask_b32_e64 v16, 0, -1, vcc_lo
	v_cmp_eq_u32_e32 vcc_lo, s39, v9
	s_delay_alu instid0(VALU_DEP_2) | instskip(SKIP_3) | instid1(VALU_DEP_3)
	v_cndmask_b32_e64 v7, v16, v7, s0
	v_cndmask_b32_e32 v9, v15, v10, vcc_lo
	v_add_co_u32 v10, vcc_lo, v11, 1
	v_add_co_ci_u32_e32 v15, vcc_lo, 0, v12, vcc_lo
	v_cmp_ne_u32_e32 vcc_lo, 0, v9
	s_delay_alu instid0(VALU_DEP_2) | instskip(SKIP_1) | instid1(VALU_DEP_2)
	v_dual_cndmask_b32 v8, v15, v14 :: v_dual_cndmask_b32 v9, v10, v13
	v_cmp_ne_u32_e32 vcc_lo, 0, v7
	v_dual_cndmask_b32 v8, v12, v8 :: v_dual_cndmask_b32 v7, v11, v9
                                        ; implicit-def: $vgpr9
.LBB21_177:
	s_and_not1_saveexec_b32 s0, s1
	s_cbranch_execz .LBB21_179
; %bb.178:
	v_cvt_f32_u32_e32 v7, s38
	s_sub_i32 s1, 0, s38
	s_delay_alu instid0(VALU_DEP_1) | instskip(SKIP_2) | instid1(VALU_DEP_1)
	v_rcp_iflag_f32_e32 v7, v7
	s_waitcnt_depctr 0xfff
	v_mul_f32_e32 v7, 0x4f7ffffe, v7
	v_cvt_u32_f32_e32 v7, v7
	s_delay_alu instid0(VALU_DEP_1) | instskip(NEXT) | instid1(VALU_DEP_1)
	v_mul_lo_u32 v8, s1, v7
	v_mul_hi_u32 v8, v7, v8
	s_delay_alu instid0(VALU_DEP_1) | instskip(NEXT) | instid1(VALU_DEP_1)
	v_add_nc_u32_e32 v7, v7, v8
	v_mul_hi_u32 v7, v9, v7
	s_delay_alu instid0(VALU_DEP_1) | instskip(NEXT) | instid1(VALU_DEP_1)
	v_mul_lo_u32 v8, v7, s38
	v_sub_nc_u32_e32 v8, v9, v8
	v_add_nc_u32_e32 v9, 1, v7
	s_delay_alu instid0(VALU_DEP_2) | instskip(SKIP_1) | instid1(VALU_DEP_2)
	v_subrev_nc_u32_e32 v10, s38, v8
	v_cmp_le_u32_e32 vcc_lo, s38, v8
	v_dual_cndmask_b32 v8, v8, v10 :: v_dual_cndmask_b32 v7, v7, v9
	s_delay_alu instid0(VALU_DEP_1) | instskip(NEXT) | instid1(VALU_DEP_2)
	v_cmp_le_u32_e32 vcc_lo, s38, v8
	v_dual_mov_b32 v8, 0 :: v_dual_add_nc_u32 v9, 1, v7
	s_delay_alu instid0(VALU_DEP_1)
	v_cndmask_b32_e32 v7, v7, v9, vcc_lo
.LBB21_179:
	s_or_b32 exec_lo, exec_lo, s0
	v_add_co_u32 v11, vcc_lo, 0x400, v31
	v_add_co_ci_u32_e32 v12, vcc_lo, 0, v32, vcc_lo
	v_mov_b32_e32 v9, 0
	s_delay_alu instid0(VALU_DEP_2) | instskip(NEXT) | instid1(VALU_DEP_1)
	v_or_b32_e32 v10, s39, v12
	v_cmp_ne_u64_e32 vcc_lo, 0, v[9:10]
                                        ; implicit-def: $vgpr9_vgpr10
	s_and_saveexec_b32 s0, vcc_lo
	s_delay_alu instid0(SALU_CYCLE_1)
	s_xor_b32 s1, exec_lo, s0
	s_cbranch_execz .LBB21_181
; %bb.180:
	v_cvt_f32_u32_e32 v9, s38
	v_cvt_f32_u32_e32 v10, s39
	s_sub_u32 s0, 0, s38
	s_subb_u32 s4, 0, s39
	s_delay_alu instid0(VALU_DEP_1) | instskip(NEXT) | instid1(VALU_DEP_1)
	v_fmamk_f32 v9, v10, 0x4f800000, v9
	v_rcp_f32_e32 v9, v9
	s_waitcnt_depctr 0xfff
	v_mul_f32_e32 v9, 0x5f7ffffc, v9
	s_delay_alu instid0(VALU_DEP_1) | instskip(NEXT) | instid1(VALU_DEP_1)
	v_mul_f32_e32 v10, 0x2f800000, v9
	v_trunc_f32_e32 v10, v10
	s_delay_alu instid0(VALU_DEP_1) | instskip(SKIP_1) | instid1(VALU_DEP_2)
	v_fmamk_f32 v9, v10, 0xcf800000, v9
	v_cvt_u32_f32_e32 v10, v10
	v_cvt_u32_f32_e32 v9, v9
	s_delay_alu instid0(VALU_DEP_2) | instskip(NEXT) | instid1(VALU_DEP_2)
	v_mul_lo_u32 v13, s0, v10
	v_mul_hi_u32 v14, s0, v9
	v_mul_lo_u32 v15, s4, v9
	s_delay_alu instid0(VALU_DEP_2) | instskip(SKIP_1) | instid1(VALU_DEP_2)
	v_add_nc_u32_e32 v13, v14, v13
	v_mul_lo_u32 v14, s0, v9
	v_add_nc_u32_e32 v13, v13, v15
	s_delay_alu instid0(VALU_DEP_2) | instskip(NEXT) | instid1(VALU_DEP_2)
	v_mul_hi_u32 v15, v9, v14
	v_mul_lo_u32 v16, v9, v13
	v_mul_hi_u32 v17, v9, v13
	v_mul_hi_u32 v18, v10, v14
	v_mul_lo_u32 v14, v10, v14
	v_mul_hi_u32 v19, v10, v13
	v_mul_lo_u32 v13, v10, v13
	v_add_co_u32 v15, vcc_lo, v15, v16
	v_add_co_ci_u32_e32 v16, vcc_lo, 0, v17, vcc_lo
	s_delay_alu instid0(VALU_DEP_2) | instskip(NEXT) | instid1(VALU_DEP_2)
	v_add_co_u32 v14, vcc_lo, v15, v14
	v_add_co_ci_u32_e32 v14, vcc_lo, v16, v18, vcc_lo
	v_add_co_ci_u32_e32 v15, vcc_lo, 0, v19, vcc_lo
	s_delay_alu instid0(VALU_DEP_2) | instskip(NEXT) | instid1(VALU_DEP_2)
	v_add_co_u32 v13, vcc_lo, v14, v13
	v_add_co_ci_u32_e32 v14, vcc_lo, 0, v15, vcc_lo
	s_delay_alu instid0(VALU_DEP_2) | instskip(NEXT) | instid1(VALU_DEP_2)
	v_add_co_u32 v9, vcc_lo, v9, v13
	v_add_co_ci_u32_e32 v10, vcc_lo, v10, v14, vcc_lo
	s_delay_alu instid0(VALU_DEP_2) | instskip(SKIP_1) | instid1(VALU_DEP_3)
	v_mul_hi_u32 v13, s0, v9
	v_mul_lo_u32 v15, s4, v9
	v_mul_lo_u32 v14, s0, v10
	s_delay_alu instid0(VALU_DEP_1) | instskip(SKIP_1) | instid1(VALU_DEP_2)
	v_add_nc_u32_e32 v13, v13, v14
	v_mul_lo_u32 v14, s0, v9
	v_add_nc_u32_e32 v13, v13, v15
	s_delay_alu instid0(VALU_DEP_2) | instskip(NEXT) | instid1(VALU_DEP_2)
	v_mul_hi_u32 v15, v9, v14
	v_mul_lo_u32 v16, v9, v13
	v_mul_hi_u32 v17, v9, v13
	v_mul_hi_u32 v18, v10, v14
	v_mul_lo_u32 v14, v10, v14
	v_mul_hi_u32 v19, v10, v13
	v_mul_lo_u32 v13, v10, v13
	v_add_co_u32 v15, vcc_lo, v15, v16
	v_add_co_ci_u32_e32 v16, vcc_lo, 0, v17, vcc_lo
	s_delay_alu instid0(VALU_DEP_2) | instskip(NEXT) | instid1(VALU_DEP_2)
	v_add_co_u32 v14, vcc_lo, v15, v14
	v_add_co_ci_u32_e32 v14, vcc_lo, v16, v18, vcc_lo
	v_add_co_ci_u32_e32 v15, vcc_lo, 0, v19, vcc_lo
	s_delay_alu instid0(VALU_DEP_2) | instskip(NEXT) | instid1(VALU_DEP_2)
	v_add_co_u32 v13, vcc_lo, v14, v13
	v_add_co_ci_u32_e32 v14, vcc_lo, 0, v15, vcc_lo
	s_delay_alu instid0(VALU_DEP_2) | instskip(NEXT) | instid1(VALU_DEP_2)
	v_add_co_u32 v15, vcc_lo, v9, v13
	v_add_co_ci_u32_e32 v17, vcc_lo, v10, v14, vcc_lo
	s_delay_alu instid0(VALU_DEP_2) | instskip(SKIP_1) | instid1(VALU_DEP_3)
	v_mul_hi_u32 v18, v11, v15
	v_mad_u64_u32 v[13:14], null, v12, v15, 0
	v_mad_u64_u32 v[9:10], null, v11, v17, 0
	;; [unrolled: 1-line block ×3, first 2 shown]
	s_delay_alu instid0(VALU_DEP_2) | instskip(NEXT) | instid1(VALU_DEP_3)
	v_add_co_u32 v9, vcc_lo, v18, v9
	v_add_co_ci_u32_e32 v10, vcc_lo, 0, v10, vcc_lo
	s_delay_alu instid0(VALU_DEP_2) | instskip(NEXT) | instid1(VALU_DEP_2)
	v_add_co_u32 v9, vcc_lo, v9, v13
	v_add_co_ci_u32_e32 v9, vcc_lo, v10, v14, vcc_lo
	v_add_co_ci_u32_e32 v10, vcc_lo, 0, v16, vcc_lo
	s_delay_alu instid0(VALU_DEP_2) | instskip(NEXT) | instid1(VALU_DEP_2)
	v_add_co_u32 v13, vcc_lo, v9, v15
	v_add_co_ci_u32_e32 v14, vcc_lo, 0, v10, vcc_lo
	s_delay_alu instid0(VALU_DEP_2) | instskip(SKIP_1) | instid1(VALU_DEP_3)
	v_mul_lo_u32 v15, s39, v13
	v_mad_u64_u32 v[9:10], null, s38, v13, 0
	v_mul_lo_u32 v16, s38, v14
	s_delay_alu instid0(VALU_DEP_2) | instskip(NEXT) | instid1(VALU_DEP_2)
	v_sub_co_u32 v9, vcc_lo, v11, v9
	v_add3_u32 v10, v10, v16, v15
	s_delay_alu instid0(VALU_DEP_1) | instskip(NEXT) | instid1(VALU_DEP_1)
	v_sub_nc_u32_e32 v15, v12, v10
	v_subrev_co_ci_u32_e64 v11, s0, s39, v15, vcc_lo
	v_add_co_u32 v15, s0, v13, 2
	s_delay_alu instid0(VALU_DEP_1) | instskip(SKIP_3) | instid1(VALU_DEP_3)
	v_add_co_ci_u32_e64 v16, s0, 0, v14, s0
	v_sub_co_u32 v17, s0, v9, s38
	v_sub_co_ci_u32_e32 v10, vcc_lo, v12, v10, vcc_lo
	v_subrev_co_ci_u32_e64 v11, s0, 0, v11, s0
	v_cmp_le_u32_e32 vcc_lo, s38, v17
	s_delay_alu instid0(VALU_DEP_3) | instskip(SKIP_1) | instid1(VALU_DEP_4)
	v_cmp_eq_u32_e64 s0, s39, v10
	v_cndmask_b32_e64 v12, 0, -1, vcc_lo
	v_cmp_le_u32_e32 vcc_lo, s39, v11
	v_cndmask_b32_e64 v17, 0, -1, vcc_lo
	v_cmp_le_u32_e32 vcc_lo, s38, v9
	v_cndmask_b32_e64 v9, 0, -1, vcc_lo
	v_cmp_le_u32_e32 vcc_lo, s39, v10
	v_cndmask_b32_e64 v18, 0, -1, vcc_lo
	v_cmp_eq_u32_e32 vcc_lo, s39, v11
	s_delay_alu instid0(VALU_DEP_2) | instskip(SKIP_3) | instid1(VALU_DEP_3)
	v_cndmask_b32_e64 v9, v18, v9, s0
	v_cndmask_b32_e32 v11, v17, v12, vcc_lo
	v_add_co_u32 v12, vcc_lo, v13, 1
	v_add_co_ci_u32_e32 v17, vcc_lo, 0, v14, vcc_lo
	v_cmp_ne_u32_e32 vcc_lo, 0, v11
	s_delay_alu instid0(VALU_DEP_2) | instskip(SKIP_1) | instid1(VALU_DEP_2)
	v_dual_cndmask_b32 v10, v17, v16 :: v_dual_cndmask_b32 v11, v12, v15
	v_cmp_ne_u32_e32 vcc_lo, 0, v9
	v_dual_cndmask_b32 v10, v14, v10 :: v_dual_cndmask_b32 v9, v13, v11
                                        ; implicit-def: $vgpr11
.LBB21_181:
	s_and_not1_saveexec_b32 s0, s1
	s_cbranch_execz .LBB21_183
; %bb.182:
	v_cvt_f32_u32_e32 v9, s38
	s_sub_i32 s1, 0, s38
	s_delay_alu instid0(VALU_DEP_1) | instskip(SKIP_2) | instid1(VALU_DEP_1)
	v_rcp_iflag_f32_e32 v9, v9
	s_waitcnt_depctr 0xfff
	v_mul_f32_e32 v9, 0x4f7ffffe, v9
	v_cvt_u32_f32_e32 v9, v9
	s_delay_alu instid0(VALU_DEP_1) | instskip(NEXT) | instid1(VALU_DEP_1)
	v_mul_lo_u32 v10, s1, v9
	v_mul_hi_u32 v10, v9, v10
	s_delay_alu instid0(VALU_DEP_1) | instskip(NEXT) | instid1(VALU_DEP_1)
	v_add_nc_u32_e32 v9, v9, v10
	v_mul_hi_u32 v9, v11, v9
	s_delay_alu instid0(VALU_DEP_1) | instskip(NEXT) | instid1(VALU_DEP_1)
	v_mul_lo_u32 v10, v9, s38
	v_sub_nc_u32_e32 v10, v11, v10
	v_add_nc_u32_e32 v11, 1, v9
	s_delay_alu instid0(VALU_DEP_2) | instskip(SKIP_1) | instid1(VALU_DEP_2)
	v_subrev_nc_u32_e32 v12, s38, v10
	v_cmp_le_u32_e32 vcc_lo, s38, v10
	v_dual_cndmask_b32 v10, v10, v12 :: v_dual_cndmask_b32 v9, v9, v11
	s_delay_alu instid0(VALU_DEP_1) | instskip(NEXT) | instid1(VALU_DEP_2)
	v_cmp_le_u32_e32 vcc_lo, s38, v10
	v_dual_mov_b32 v10, 0 :: v_dual_add_nc_u32 v11, 1, v9
	s_delay_alu instid0(VALU_DEP_1)
	v_cndmask_b32_e32 v9, v9, v11, vcc_lo
.LBB21_183:
	s_or_b32 exec_lo, exec_lo, s0
	v_add_co_u32 v13, vcc_lo, 0x500, v31
	v_add_co_ci_u32_e32 v14, vcc_lo, 0, v32, vcc_lo
	v_mov_b32_e32 v11, 0
	s_delay_alu instid0(VALU_DEP_2) | instskip(NEXT) | instid1(VALU_DEP_1)
	v_or_b32_e32 v12, s39, v14
	v_cmp_ne_u64_e32 vcc_lo, 0, v[11:12]
                                        ; implicit-def: $vgpr11_vgpr12
	s_and_saveexec_b32 s0, vcc_lo
	s_delay_alu instid0(SALU_CYCLE_1)
	s_xor_b32 s1, exec_lo, s0
	s_cbranch_execz .LBB21_185
; %bb.184:
	v_cvt_f32_u32_e32 v11, s38
	v_cvt_f32_u32_e32 v12, s39
	s_sub_u32 s0, 0, s38
	s_subb_u32 s4, 0, s39
	s_delay_alu instid0(VALU_DEP_1) | instskip(NEXT) | instid1(VALU_DEP_1)
	v_fmamk_f32 v11, v12, 0x4f800000, v11
	v_rcp_f32_e32 v11, v11
	s_waitcnt_depctr 0xfff
	v_mul_f32_e32 v11, 0x5f7ffffc, v11
	s_delay_alu instid0(VALU_DEP_1) | instskip(NEXT) | instid1(VALU_DEP_1)
	v_mul_f32_e32 v12, 0x2f800000, v11
	v_trunc_f32_e32 v12, v12
	s_delay_alu instid0(VALU_DEP_1) | instskip(SKIP_1) | instid1(VALU_DEP_2)
	v_fmamk_f32 v11, v12, 0xcf800000, v11
	v_cvt_u32_f32_e32 v12, v12
	v_cvt_u32_f32_e32 v11, v11
	s_delay_alu instid0(VALU_DEP_2) | instskip(NEXT) | instid1(VALU_DEP_2)
	v_mul_lo_u32 v15, s0, v12
	v_mul_hi_u32 v16, s0, v11
	v_mul_lo_u32 v17, s4, v11
	s_delay_alu instid0(VALU_DEP_2) | instskip(SKIP_1) | instid1(VALU_DEP_2)
	v_add_nc_u32_e32 v15, v16, v15
	v_mul_lo_u32 v16, s0, v11
	v_add_nc_u32_e32 v15, v15, v17
	s_delay_alu instid0(VALU_DEP_2) | instskip(NEXT) | instid1(VALU_DEP_2)
	v_mul_hi_u32 v17, v11, v16
	v_mul_lo_u32 v18, v11, v15
	v_mul_hi_u32 v19, v11, v15
	v_mul_hi_u32 v20, v12, v16
	v_mul_lo_u32 v16, v12, v16
	v_mul_hi_u32 v21, v12, v15
	v_mul_lo_u32 v15, v12, v15
	v_add_co_u32 v17, vcc_lo, v17, v18
	v_add_co_ci_u32_e32 v18, vcc_lo, 0, v19, vcc_lo
	s_delay_alu instid0(VALU_DEP_2) | instskip(NEXT) | instid1(VALU_DEP_2)
	v_add_co_u32 v16, vcc_lo, v17, v16
	v_add_co_ci_u32_e32 v16, vcc_lo, v18, v20, vcc_lo
	v_add_co_ci_u32_e32 v17, vcc_lo, 0, v21, vcc_lo
	s_delay_alu instid0(VALU_DEP_2) | instskip(NEXT) | instid1(VALU_DEP_2)
	v_add_co_u32 v15, vcc_lo, v16, v15
	v_add_co_ci_u32_e32 v16, vcc_lo, 0, v17, vcc_lo
	s_delay_alu instid0(VALU_DEP_2) | instskip(NEXT) | instid1(VALU_DEP_2)
	v_add_co_u32 v11, vcc_lo, v11, v15
	v_add_co_ci_u32_e32 v12, vcc_lo, v12, v16, vcc_lo
	s_delay_alu instid0(VALU_DEP_2) | instskip(SKIP_1) | instid1(VALU_DEP_3)
	v_mul_hi_u32 v15, s0, v11
	v_mul_lo_u32 v17, s4, v11
	v_mul_lo_u32 v16, s0, v12
	s_delay_alu instid0(VALU_DEP_1) | instskip(SKIP_1) | instid1(VALU_DEP_2)
	v_add_nc_u32_e32 v15, v15, v16
	v_mul_lo_u32 v16, s0, v11
	v_add_nc_u32_e32 v15, v15, v17
	s_delay_alu instid0(VALU_DEP_2) | instskip(NEXT) | instid1(VALU_DEP_2)
	v_mul_hi_u32 v17, v11, v16
	v_mul_lo_u32 v18, v11, v15
	v_mul_hi_u32 v19, v11, v15
	v_mul_hi_u32 v20, v12, v16
	v_mul_lo_u32 v16, v12, v16
	v_mul_hi_u32 v21, v12, v15
	v_mul_lo_u32 v15, v12, v15
	v_add_co_u32 v17, vcc_lo, v17, v18
	v_add_co_ci_u32_e32 v18, vcc_lo, 0, v19, vcc_lo
	s_delay_alu instid0(VALU_DEP_2) | instskip(NEXT) | instid1(VALU_DEP_2)
	v_add_co_u32 v16, vcc_lo, v17, v16
	v_add_co_ci_u32_e32 v16, vcc_lo, v18, v20, vcc_lo
	v_add_co_ci_u32_e32 v17, vcc_lo, 0, v21, vcc_lo
	s_delay_alu instid0(VALU_DEP_2) | instskip(NEXT) | instid1(VALU_DEP_2)
	v_add_co_u32 v15, vcc_lo, v16, v15
	v_add_co_ci_u32_e32 v16, vcc_lo, 0, v17, vcc_lo
	s_delay_alu instid0(VALU_DEP_2) | instskip(NEXT) | instid1(VALU_DEP_2)
	v_add_co_u32 v17, vcc_lo, v11, v15
	v_add_co_ci_u32_e32 v19, vcc_lo, v12, v16, vcc_lo
	s_delay_alu instid0(VALU_DEP_2) | instskip(SKIP_1) | instid1(VALU_DEP_3)
	v_mul_hi_u32 v20, v13, v17
	v_mad_u64_u32 v[15:16], null, v14, v17, 0
	v_mad_u64_u32 v[11:12], null, v13, v19, 0
	;; [unrolled: 1-line block ×3, first 2 shown]
	s_delay_alu instid0(VALU_DEP_2) | instskip(NEXT) | instid1(VALU_DEP_3)
	v_add_co_u32 v11, vcc_lo, v20, v11
	v_add_co_ci_u32_e32 v12, vcc_lo, 0, v12, vcc_lo
	s_delay_alu instid0(VALU_DEP_2) | instskip(NEXT) | instid1(VALU_DEP_2)
	v_add_co_u32 v11, vcc_lo, v11, v15
	v_add_co_ci_u32_e32 v11, vcc_lo, v12, v16, vcc_lo
	v_add_co_ci_u32_e32 v12, vcc_lo, 0, v18, vcc_lo
	s_delay_alu instid0(VALU_DEP_2) | instskip(NEXT) | instid1(VALU_DEP_2)
	v_add_co_u32 v15, vcc_lo, v11, v17
	v_add_co_ci_u32_e32 v16, vcc_lo, 0, v12, vcc_lo
	s_delay_alu instid0(VALU_DEP_2) | instskip(SKIP_1) | instid1(VALU_DEP_3)
	v_mul_lo_u32 v17, s39, v15
	v_mad_u64_u32 v[11:12], null, s38, v15, 0
	v_mul_lo_u32 v18, s38, v16
	s_delay_alu instid0(VALU_DEP_2) | instskip(NEXT) | instid1(VALU_DEP_2)
	v_sub_co_u32 v11, vcc_lo, v13, v11
	v_add3_u32 v12, v12, v18, v17
	s_delay_alu instid0(VALU_DEP_1) | instskip(NEXT) | instid1(VALU_DEP_1)
	v_sub_nc_u32_e32 v17, v14, v12
	v_subrev_co_ci_u32_e64 v13, s0, s39, v17, vcc_lo
	v_add_co_u32 v17, s0, v15, 2
	s_delay_alu instid0(VALU_DEP_1) | instskip(SKIP_3) | instid1(VALU_DEP_3)
	v_add_co_ci_u32_e64 v18, s0, 0, v16, s0
	v_sub_co_u32 v19, s0, v11, s38
	v_sub_co_ci_u32_e32 v12, vcc_lo, v14, v12, vcc_lo
	v_subrev_co_ci_u32_e64 v13, s0, 0, v13, s0
	v_cmp_le_u32_e32 vcc_lo, s38, v19
	s_delay_alu instid0(VALU_DEP_3) | instskip(SKIP_1) | instid1(VALU_DEP_4)
	v_cmp_eq_u32_e64 s0, s39, v12
	v_cndmask_b32_e64 v14, 0, -1, vcc_lo
	v_cmp_le_u32_e32 vcc_lo, s39, v13
	v_cndmask_b32_e64 v19, 0, -1, vcc_lo
	v_cmp_le_u32_e32 vcc_lo, s38, v11
	;; [unrolled: 2-line block ×3, first 2 shown]
	v_cndmask_b32_e64 v20, 0, -1, vcc_lo
	v_cmp_eq_u32_e32 vcc_lo, s39, v13
	s_delay_alu instid0(VALU_DEP_2) | instskip(SKIP_3) | instid1(VALU_DEP_3)
	v_cndmask_b32_e64 v11, v20, v11, s0
	v_cndmask_b32_e32 v13, v19, v14, vcc_lo
	v_add_co_u32 v14, vcc_lo, v15, 1
	v_add_co_ci_u32_e32 v19, vcc_lo, 0, v16, vcc_lo
	v_cmp_ne_u32_e32 vcc_lo, 0, v13
	s_delay_alu instid0(VALU_DEP_2) | instskip(SKIP_1) | instid1(VALU_DEP_2)
	v_dual_cndmask_b32 v12, v19, v18 :: v_dual_cndmask_b32 v13, v14, v17
	v_cmp_ne_u32_e32 vcc_lo, 0, v11
	v_dual_cndmask_b32 v12, v16, v12 :: v_dual_cndmask_b32 v11, v15, v13
                                        ; implicit-def: $vgpr13
.LBB21_185:
	s_and_not1_saveexec_b32 s0, s1
	s_cbranch_execz .LBB21_187
; %bb.186:
	v_cvt_f32_u32_e32 v11, s38
	s_sub_i32 s1, 0, s38
	s_delay_alu instid0(VALU_DEP_1) | instskip(SKIP_2) | instid1(VALU_DEP_1)
	v_rcp_iflag_f32_e32 v11, v11
	s_waitcnt_depctr 0xfff
	v_mul_f32_e32 v11, 0x4f7ffffe, v11
	v_cvt_u32_f32_e32 v11, v11
	s_delay_alu instid0(VALU_DEP_1) | instskip(NEXT) | instid1(VALU_DEP_1)
	v_mul_lo_u32 v12, s1, v11
	v_mul_hi_u32 v12, v11, v12
	s_delay_alu instid0(VALU_DEP_1) | instskip(NEXT) | instid1(VALU_DEP_1)
	v_add_nc_u32_e32 v11, v11, v12
	v_mul_hi_u32 v11, v13, v11
	s_delay_alu instid0(VALU_DEP_1) | instskip(NEXT) | instid1(VALU_DEP_1)
	v_mul_lo_u32 v12, v11, s38
	v_sub_nc_u32_e32 v12, v13, v12
	v_add_nc_u32_e32 v13, 1, v11
	s_delay_alu instid0(VALU_DEP_2) | instskip(SKIP_1) | instid1(VALU_DEP_2)
	v_subrev_nc_u32_e32 v14, s38, v12
	v_cmp_le_u32_e32 vcc_lo, s38, v12
	v_dual_cndmask_b32 v12, v12, v14 :: v_dual_cndmask_b32 v11, v11, v13
	s_delay_alu instid0(VALU_DEP_1) | instskip(NEXT) | instid1(VALU_DEP_2)
	v_cmp_le_u32_e32 vcc_lo, s38, v12
	v_dual_mov_b32 v12, 0 :: v_dual_add_nc_u32 v13, 1, v11
	s_delay_alu instid0(VALU_DEP_1)
	v_cndmask_b32_e32 v11, v11, v13, vcc_lo
.LBB21_187:
	s_or_b32 exec_lo, exec_lo, s0
	v_add_co_u32 v15, vcc_lo, 0x600, v31
	v_add_co_ci_u32_e32 v16, vcc_lo, 0, v32, vcc_lo
	v_mov_b32_e32 v13, 0
	s_delay_alu instid0(VALU_DEP_2) | instskip(NEXT) | instid1(VALU_DEP_1)
	v_or_b32_e32 v14, s39, v16
	v_cmp_ne_u64_e32 vcc_lo, 0, v[13:14]
                                        ; implicit-def: $vgpr13_vgpr14
	s_and_saveexec_b32 s0, vcc_lo
	s_delay_alu instid0(SALU_CYCLE_1)
	s_xor_b32 s1, exec_lo, s0
	s_cbranch_execz .LBB21_189
; %bb.188:
	v_cvt_f32_u32_e32 v13, s38
	v_cvt_f32_u32_e32 v14, s39
	s_sub_u32 s0, 0, s38
	s_subb_u32 s4, 0, s39
	s_delay_alu instid0(VALU_DEP_1) | instskip(NEXT) | instid1(VALU_DEP_1)
	v_fmamk_f32 v13, v14, 0x4f800000, v13
	v_rcp_f32_e32 v13, v13
	s_waitcnt_depctr 0xfff
	v_mul_f32_e32 v13, 0x5f7ffffc, v13
	s_delay_alu instid0(VALU_DEP_1) | instskip(NEXT) | instid1(VALU_DEP_1)
	v_mul_f32_e32 v14, 0x2f800000, v13
	v_trunc_f32_e32 v14, v14
	s_delay_alu instid0(VALU_DEP_1) | instskip(SKIP_1) | instid1(VALU_DEP_2)
	v_fmamk_f32 v13, v14, 0xcf800000, v13
	v_cvt_u32_f32_e32 v14, v14
	v_cvt_u32_f32_e32 v13, v13
	s_delay_alu instid0(VALU_DEP_2) | instskip(NEXT) | instid1(VALU_DEP_2)
	v_mul_lo_u32 v17, s0, v14
	v_mul_hi_u32 v18, s0, v13
	v_mul_lo_u32 v19, s4, v13
	s_delay_alu instid0(VALU_DEP_2) | instskip(SKIP_1) | instid1(VALU_DEP_2)
	v_add_nc_u32_e32 v17, v18, v17
	v_mul_lo_u32 v18, s0, v13
	v_add_nc_u32_e32 v17, v17, v19
	s_delay_alu instid0(VALU_DEP_2) | instskip(NEXT) | instid1(VALU_DEP_2)
	v_mul_hi_u32 v19, v13, v18
	v_mul_lo_u32 v20, v13, v17
	v_mul_hi_u32 v21, v13, v17
	v_mul_hi_u32 v22, v14, v18
	v_mul_lo_u32 v18, v14, v18
	v_mul_hi_u32 v23, v14, v17
	v_mul_lo_u32 v17, v14, v17
	v_add_co_u32 v19, vcc_lo, v19, v20
	v_add_co_ci_u32_e32 v20, vcc_lo, 0, v21, vcc_lo
	s_delay_alu instid0(VALU_DEP_2) | instskip(NEXT) | instid1(VALU_DEP_2)
	v_add_co_u32 v18, vcc_lo, v19, v18
	v_add_co_ci_u32_e32 v18, vcc_lo, v20, v22, vcc_lo
	v_add_co_ci_u32_e32 v19, vcc_lo, 0, v23, vcc_lo
	s_delay_alu instid0(VALU_DEP_2) | instskip(NEXT) | instid1(VALU_DEP_2)
	v_add_co_u32 v17, vcc_lo, v18, v17
	v_add_co_ci_u32_e32 v18, vcc_lo, 0, v19, vcc_lo
	s_delay_alu instid0(VALU_DEP_2) | instskip(NEXT) | instid1(VALU_DEP_2)
	v_add_co_u32 v13, vcc_lo, v13, v17
	v_add_co_ci_u32_e32 v14, vcc_lo, v14, v18, vcc_lo
	s_delay_alu instid0(VALU_DEP_2) | instskip(SKIP_1) | instid1(VALU_DEP_3)
	v_mul_hi_u32 v17, s0, v13
	v_mul_lo_u32 v19, s4, v13
	v_mul_lo_u32 v18, s0, v14
	s_delay_alu instid0(VALU_DEP_1) | instskip(SKIP_1) | instid1(VALU_DEP_2)
	v_add_nc_u32_e32 v17, v17, v18
	v_mul_lo_u32 v18, s0, v13
	v_add_nc_u32_e32 v17, v17, v19
	s_delay_alu instid0(VALU_DEP_2) | instskip(NEXT) | instid1(VALU_DEP_2)
	v_mul_hi_u32 v19, v13, v18
	v_mul_lo_u32 v20, v13, v17
	v_mul_hi_u32 v21, v13, v17
	v_mul_hi_u32 v22, v14, v18
	v_mul_lo_u32 v18, v14, v18
	v_mul_hi_u32 v23, v14, v17
	v_mul_lo_u32 v17, v14, v17
	v_add_co_u32 v19, vcc_lo, v19, v20
	v_add_co_ci_u32_e32 v20, vcc_lo, 0, v21, vcc_lo
	s_delay_alu instid0(VALU_DEP_2) | instskip(NEXT) | instid1(VALU_DEP_2)
	v_add_co_u32 v18, vcc_lo, v19, v18
	v_add_co_ci_u32_e32 v18, vcc_lo, v20, v22, vcc_lo
	v_add_co_ci_u32_e32 v19, vcc_lo, 0, v23, vcc_lo
	s_delay_alu instid0(VALU_DEP_2) | instskip(NEXT) | instid1(VALU_DEP_2)
	v_add_co_u32 v17, vcc_lo, v18, v17
	v_add_co_ci_u32_e32 v18, vcc_lo, 0, v19, vcc_lo
	s_delay_alu instid0(VALU_DEP_2) | instskip(NEXT) | instid1(VALU_DEP_2)
	v_add_co_u32 v19, vcc_lo, v13, v17
	v_add_co_ci_u32_e32 v21, vcc_lo, v14, v18, vcc_lo
	s_delay_alu instid0(VALU_DEP_2) | instskip(SKIP_1) | instid1(VALU_DEP_3)
	v_mul_hi_u32 v22, v15, v19
	v_mad_u64_u32 v[17:18], null, v16, v19, 0
	v_mad_u64_u32 v[13:14], null, v15, v21, 0
	;; [unrolled: 1-line block ×3, first 2 shown]
	s_delay_alu instid0(VALU_DEP_2) | instskip(NEXT) | instid1(VALU_DEP_3)
	v_add_co_u32 v13, vcc_lo, v22, v13
	v_add_co_ci_u32_e32 v14, vcc_lo, 0, v14, vcc_lo
	s_delay_alu instid0(VALU_DEP_2) | instskip(NEXT) | instid1(VALU_DEP_2)
	v_add_co_u32 v13, vcc_lo, v13, v17
	v_add_co_ci_u32_e32 v13, vcc_lo, v14, v18, vcc_lo
	v_add_co_ci_u32_e32 v14, vcc_lo, 0, v20, vcc_lo
	s_delay_alu instid0(VALU_DEP_2) | instskip(NEXT) | instid1(VALU_DEP_2)
	v_add_co_u32 v17, vcc_lo, v13, v19
	v_add_co_ci_u32_e32 v18, vcc_lo, 0, v14, vcc_lo
	s_delay_alu instid0(VALU_DEP_2) | instskip(SKIP_1) | instid1(VALU_DEP_3)
	v_mul_lo_u32 v19, s39, v17
	v_mad_u64_u32 v[13:14], null, s38, v17, 0
	v_mul_lo_u32 v20, s38, v18
	s_delay_alu instid0(VALU_DEP_2) | instskip(NEXT) | instid1(VALU_DEP_2)
	v_sub_co_u32 v13, vcc_lo, v15, v13
	v_add3_u32 v14, v14, v20, v19
	s_delay_alu instid0(VALU_DEP_1) | instskip(NEXT) | instid1(VALU_DEP_1)
	v_sub_nc_u32_e32 v19, v16, v14
	v_subrev_co_ci_u32_e64 v15, s0, s39, v19, vcc_lo
	v_add_co_u32 v19, s0, v17, 2
	s_delay_alu instid0(VALU_DEP_1) | instskip(SKIP_3) | instid1(VALU_DEP_3)
	v_add_co_ci_u32_e64 v20, s0, 0, v18, s0
	v_sub_co_u32 v21, s0, v13, s38
	v_sub_co_ci_u32_e32 v14, vcc_lo, v16, v14, vcc_lo
	v_subrev_co_ci_u32_e64 v15, s0, 0, v15, s0
	v_cmp_le_u32_e32 vcc_lo, s38, v21
	s_delay_alu instid0(VALU_DEP_3) | instskip(SKIP_1) | instid1(VALU_DEP_4)
	v_cmp_eq_u32_e64 s0, s39, v14
	v_cndmask_b32_e64 v16, 0, -1, vcc_lo
	v_cmp_le_u32_e32 vcc_lo, s39, v15
	v_cndmask_b32_e64 v21, 0, -1, vcc_lo
	v_cmp_le_u32_e32 vcc_lo, s38, v13
	;; [unrolled: 2-line block ×3, first 2 shown]
	v_cndmask_b32_e64 v22, 0, -1, vcc_lo
	v_cmp_eq_u32_e32 vcc_lo, s39, v15
	s_delay_alu instid0(VALU_DEP_2) | instskip(SKIP_3) | instid1(VALU_DEP_3)
	v_cndmask_b32_e64 v13, v22, v13, s0
	v_cndmask_b32_e32 v15, v21, v16, vcc_lo
	v_add_co_u32 v16, vcc_lo, v17, 1
	v_add_co_ci_u32_e32 v21, vcc_lo, 0, v18, vcc_lo
	v_cmp_ne_u32_e32 vcc_lo, 0, v15
	s_delay_alu instid0(VALU_DEP_2) | instskip(SKIP_1) | instid1(VALU_DEP_2)
	v_dual_cndmask_b32 v14, v21, v20 :: v_dual_cndmask_b32 v15, v16, v19
	v_cmp_ne_u32_e32 vcc_lo, 0, v13
	v_dual_cndmask_b32 v14, v18, v14 :: v_dual_cndmask_b32 v13, v17, v15
                                        ; implicit-def: $vgpr15
.LBB21_189:
	s_and_not1_saveexec_b32 s0, s1
	s_cbranch_execz .LBB21_191
; %bb.190:
	v_cvt_f32_u32_e32 v13, s38
	s_sub_i32 s1, 0, s38
	s_delay_alu instid0(VALU_DEP_1) | instskip(SKIP_2) | instid1(VALU_DEP_1)
	v_rcp_iflag_f32_e32 v13, v13
	s_waitcnt_depctr 0xfff
	v_mul_f32_e32 v13, 0x4f7ffffe, v13
	v_cvt_u32_f32_e32 v13, v13
	s_delay_alu instid0(VALU_DEP_1) | instskip(NEXT) | instid1(VALU_DEP_1)
	v_mul_lo_u32 v14, s1, v13
	v_mul_hi_u32 v14, v13, v14
	s_delay_alu instid0(VALU_DEP_1) | instskip(NEXT) | instid1(VALU_DEP_1)
	v_add_nc_u32_e32 v13, v13, v14
	v_mul_hi_u32 v13, v15, v13
	s_delay_alu instid0(VALU_DEP_1) | instskip(NEXT) | instid1(VALU_DEP_1)
	v_mul_lo_u32 v14, v13, s38
	v_sub_nc_u32_e32 v14, v15, v14
	v_add_nc_u32_e32 v15, 1, v13
	s_delay_alu instid0(VALU_DEP_2) | instskip(SKIP_1) | instid1(VALU_DEP_2)
	v_subrev_nc_u32_e32 v16, s38, v14
	v_cmp_le_u32_e32 vcc_lo, s38, v14
	v_dual_cndmask_b32 v14, v14, v16 :: v_dual_cndmask_b32 v13, v13, v15
	s_delay_alu instid0(VALU_DEP_1) | instskip(NEXT) | instid1(VALU_DEP_2)
	v_cmp_le_u32_e32 vcc_lo, s38, v14
	v_dual_mov_b32 v14, 0 :: v_dual_add_nc_u32 v15, 1, v13
	s_delay_alu instid0(VALU_DEP_1)
	v_cndmask_b32_e32 v13, v13, v15, vcc_lo
.LBB21_191:
	s_or_b32 exec_lo, exec_lo, s0
	v_add_co_u32 v17, vcc_lo, 0x700, v31
	v_add_co_ci_u32_e32 v18, vcc_lo, 0, v32, vcc_lo
	v_mov_b32_e32 v15, 0
	s_delay_alu instid0(VALU_DEP_2) | instskip(NEXT) | instid1(VALU_DEP_1)
	v_or_b32_e32 v16, s39, v18
	v_cmp_ne_u64_e32 vcc_lo, 0, v[15:16]
                                        ; implicit-def: $vgpr15_vgpr16
	s_and_saveexec_b32 s0, vcc_lo
	s_delay_alu instid0(SALU_CYCLE_1)
	s_xor_b32 s1, exec_lo, s0
	s_cbranch_execz .LBB21_193
; %bb.192:
	v_cvt_f32_u32_e32 v15, s38
	v_cvt_f32_u32_e32 v16, s39
	s_sub_u32 s0, 0, s38
	s_subb_u32 s4, 0, s39
	s_delay_alu instid0(VALU_DEP_1) | instskip(NEXT) | instid1(VALU_DEP_1)
	v_fmamk_f32 v15, v16, 0x4f800000, v15
	v_rcp_f32_e32 v15, v15
	s_waitcnt_depctr 0xfff
	v_mul_f32_e32 v15, 0x5f7ffffc, v15
	s_delay_alu instid0(VALU_DEP_1) | instskip(NEXT) | instid1(VALU_DEP_1)
	v_mul_f32_e32 v16, 0x2f800000, v15
	v_trunc_f32_e32 v16, v16
	s_delay_alu instid0(VALU_DEP_1) | instskip(SKIP_1) | instid1(VALU_DEP_2)
	v_fmamk_f32 v15, v16, 0xcf800000, v15
	v_cvt_u32_f32_e32 v16, v16
	v_cvt_u32_f32_e32 v15, v15
	s_delay_alu instid0(VALU_DEP_2) | instskip(NEXT) | instid1(VALU_DEP_2)
	v_mul_lo_u32 v19, s0, v16
	v_mul_hi_u32 v20, s0, v15
	v_mul_lo_u32 v21, s4, v15
	s_delay_alu instid0(VALU_DEP_2) | instskip(SKIP_1) | instid1(VALU_DEP_2)
	v_add_nc_u32_e32 v19, v20, v19
	v_mul_lo_u32 v20, s0, v15
	v_add_nc_u32_e32 v19, v19, v21
	s_delay_alu instid0(VALU_DEP_2) | instskip(NEXT) | instid1(VALU_DEP_2)
	v_mul_hi_u32 v21, v15, v20
	v_mul_lo_u32 v22, v15, v19
	v_mul_hi_u32 v23, v15, v19
	v_mul_hi_u32 v24, v16, v20
	v_mul_lo_u32 v20, v16, v20
	v_mul_hi_u32 v25, v16, v19
	v_mul_lo_u32 v19, v16, v19
	v_add_co_u32 v21, vcc_lo, v21, v22
	v_add_co_ci_u32_e32 v22, vcc_lo, 0, v23, vcc_lo
	s_delay_alu instid0(VALU_DEP_2) | instskip(NEXT) | instid1(VALU_DEP_2)
	v_add_co_u32 v20, vcc_lo, v21, v20
	v_add_co_ci_u32_e32 v20, vcc_lo, v22, v24, vcc_lo
	v_add_co_ci_u32_e32 v21, vcc_lo, 0, v25, vcc_lo
	s_delay_alu instid0(VALU_DEP_2) | instskip(NEXT) | instid1(VALU_DEP_2)
	v_add_co_u32 v19, vcc_lo, v20, v19
	v_add_co_ci_u32_e32 v20, vcc_lo, 0, v21, vcc_lo
	s_delay_alu instid0(VALU_DEP_2) | instskip(NEXT) | instid1(VALU_DEP_2)
	v_add_co_u32 v15, vcc_lo, v15, v19
	v_add_co_ci_u32_e32 v16, vcc_lo, v16, v20, vcc_lo
	s_delay_alu instid0(VALU_DEP_2) | instskip(SKIP_1) | instid1(VALU_DEP_3)
	v_mul_hi_u32 v19, s0, v15
	v_mul_lo_u32 v21, s4, v15
	v_mul_lo_u32 v20, s0, v16
	s_delay_alu instid0(VALU_DEP_1) | instskip(SKIP_1) | instid1(VALU_DEP_2)
	v_add_nc_u32_e32 v19, v19, v20
	v_mul_lo_u32 v20, s0, v15
	v_add_nc_u32_e32 v19, v19, v21
	s_delay_alu instid0(VALU_DEP_2) | instskip(NEXT) | instid1(VALU_DEP_2)
	v_mul_hi_u32 v21, v15, v20
	v_mul_lo_u32 v22, v15, v19
	v_mul_hi_u32 v23, v15, v19
	v_mul_hi_u32 v24, v16, v20
	v_mul_lo_u32 v20, v16, v20
	v_mul_hi_u32 v25, v16, v19
	v_mul_lo_u32 v19, v16, v19
	v_add_co_u32 v21, vcc_lo, v21, v22
	v_add_co_ci_u32_e32 v22, vcc_lo, 0, v23, vcc_lo
	s_delay_alu instid0(VALU_DEP_2) | instskip(NEXT) | instid1(VALU_DEP_2)
	v_add_co_u32 v20, vcc_lo, v21, v20
	v_add_co_ci_u32_e32 v20, vcc_lo, v22, v24, vcc_lo
	v_add_co_ci_u32_e32 v21, vcc_lo, 0, v25, vcc_lo
	s_delay_alu instid0(VALU_DEP_2) | instskip(NEXT) | instid1(VALU_DEP_2)
	v_add_co_u32 v19, vcc_lo, v20, v19
	v_add_co_ci_u32_e32 v20, vcc_lo, 0, v21, vcc_lo
	s_delay_alu instid0(VALU_DEP_2) | instskip(NEXT) | instid1(VALU_DEP_2)
	v_add_co_u32 v21, vcc_lo, v15, v19
	v_add_co_ci_u32_e32 v23, vcc_lo, v16, v20, vcc_lo
	s_delay_alu instid0(VALU_DEP_2) | instskip(SKIP_1) | instid1(VALU_DEP_3)
	v_mul_hi_u32 v24, v17, v21
	v_mad_u64_u32 v[19:20], null, v18, v21, 0
	v_mad_u64_u32 v[15:16], null, v17, v23, 0
	;; [unrolled: 1-line block ×3, first 2 shown]
	s_delay_alu instid0(VALU_DEP_2) | instskip(NEXT) | instid1(VALU_DEP_3)
	v_add_co_u32 v15, vcc_lo, v24, v15
	v_add_co_ci_u32_e32 v16, vcc_lo, 0, v16, vcc_lo
	s_delay_alu instid0(VALU_DEP_2) | instskip(NEXT) | instid1(VALU_DEP_2)
	v_add_co_u32 v15, vcc_lo, v15, v19
	v_add_co_ci_u32_e32 v15, vcc_lo, v16, v20, vcc_lo
	v_add_co_ci_u32_e32 v16, vcc_lo, 0, v22, vcc_lo
	s_delay_alu instid0(VALU_DEP_2) | instskip(NEXT) | instid1(VALU_DEP_2)
	v_add_co_u32 v19, vcc_lo, v15, v21
	v_add_co_ci_u32_e32 v20, vcc_lo, 0, v16, vcc_lo
	s_delay_alu instid0(VALU_DEP_2) | instskip(SKIP_1) | instid1(VALU_DEP_3)
	v_mul_lo_u32 v21, s39, v19
	v_mad_u64_u32 v[15:16], null, s38, v19, 0
	v_mul_lo_u32 v22, s38, v20
	s_delay_alu instid0(VALU_DEP_2) | instskip(NEXT) | instid1(VALU_DEP_2)
	v_sub_co_u32 v15, vcc_lo, v17, v15
	v_add3_u32 v16, v16, v22, v21
	s_delay_alu instid0(VALU_DEP_1) | instskip(NEXT) | instid1(VALU_DEP_1)
	v_sub_nc_u32_e32 v21, v18, v16
	v_subrev_co_ci_u32_e64 v17, s0, s39, v21, vcc_lo
	v_add_co_u32 v21, s0, v19, 2
	s_delay_alu instid0(VALU_DEP_1) | instskip(SKIP_3) | instid1(VALU_DEP_3)
	v_add_co_ci_u32_e64 v22, s0, 0, v20, s0
	v_sub_co_u32 v23, s0, v15, s38
	v_sub_co_ci_u32_e32 v16, vcc_lo, v18, v16, vcc_lo
	v_subrev_co_ci_u32_e64 v17, s0, 0, v17, s0
	v_cmp_le_u32_e32 vcc_lo, s38, v23
	s_delay_alu instid0(VALU_DEP_3) | instskip(SKIP_1) | instid1(VALU_DEP_4)
	v_cmp_eq_u32_e64 s0, s39, v16
	v_cndmask_b32_e64 v18, 0, -1, vcc_lo
	v_cmp_le_u32_e32 vcc_lo, s39, v17
	v_cndmask_b32_e64 v23, 0, -1, vcc_lo
	v_cmp_le_u32_e32 vcc_lo, s38, v15
	;; [unrolled: 2-line block ×3, first 2 shown]
	v_cndmask_b32_e64 v24, 0, -1, vcc_lo
	v_cmp_eq_u32_e32 vcc_lo, s39, v17
	s_delay_alu instid0(VALU_DEP_2) | instskip(SKIP_3) | instid1(VALU_DEP_3)
	v_cndmask_b32_e64 v15, v24, v15, s0
	v_cndmask_b32_e32 v17, v23, v18, vcc_lo
	v_add_co_u32 v18, vcc_lo, v19, 1
	v_add_co_ci_u32_e32 v23, vcc_lo, 0, v20, vcc_lo
	v_cmp_ne_u32_e32 vcc_lo, 0, v17
	s_delay_alu instid0(VALU_DEP_2) | instskip(SKIP_1) | instid1(VALU_DEP_2)
	v_dual_cndmask_b32 v16, v23, v22 :: v_dual_cndmask_b32 v17, v18, v21
	v_cmp_ne_u32_e32 vcc_lo, 0, v15
	v_dual_cndmask_b32 v16, v20, v16 :: v_dual_cndmask_b32 v15, v19, v17
                                        ; implicit-def: $vgpr17
.LBB21_193:
	s_and_not1_saveexec_b32 s0, s1
	s_cbranch_execz .LBB21_195
; %bb.194:
	v_cvt_f32_u32_e32 v15, s38
	s_sub_i32 s1, 0, s38
	s_delay_alu instid0(VALU_DEP_1) | instskip(SKIP_2) | instid1(VALU_DEP_1)
	v_rcp_iflag_f32_e32 v15, v15
	s_waitcnt_depctr 0xfff
	v_mul_f32_e32 v15, 0x4f7ffffe, v15
	v_cvt_u32_f32_e32 v15, v15
	s_delay_alu instid0(VALU_DEP_1) | instskip(NEXT) | instid1(VALU_DEP_1)
	v_mul_lo_u32 v16, s1, v15
	v_mul_hi_u32 v16, v15, v16
	s_delay_alu instid0(VALU_DEP_1) | instskip(NEXT) | instid1(VALU_DEP_1)
	v_add_nc_u32_e32 v15, v15, v16
	v_mul_hi_u32 v15, v17, v15
	s_delay_alu instid0(VALU_DEP_1) | instskip(NEXT) | instid1(VALU_DEP_1)
	v_mul_lo_u32 v16, v15, s38
	v_sub_nc_u32_e32 v16, v17, v16
	v_add_nc_u32_e32 v17, 1, v15
	s_delay_alu instid0(VALU_DEP_2) | instskip(SKIP_1) | instid1(VALU_DEP_2)
	v_subrev_nc_u32_e32 v18, s38, v16
	v_cmp_le_u32_e32 vcc_lo, s38, v16
	v_dual_cndmask_b32 v16, v16, v18 :: v_dual_cndmask_b32 v15, v15, v17
	s_delay_alu instid0(VALU_DEP_1) | instskip(NEXT) | instid1(VALU_DEP_2)
	v_cmp_le_u32_e32 vcc_lo, s38, v16
	v_dual_mov_b32 v16, 0 :: v_dual_add_nc_u32 v17, 1, v15
	s_delay_alu instid0(VALU_DEP_1)
	v_cndmask_b32_e32 v15, v15, v17, vcc_lo
.LBB21_195:
	s_or_b32 exec_lo, exec_lo, s0
	v_add_co_u32 v19, vcc_lo, 0x800, v31
	v_add_co_ci_u32_e32 v20, vcc_lo, 0, v32, vcc_lo
	v_mov_b32_e32 v17, 0
	s_delay_alu instid0(VALU_DEP_2) | instskip(NEXT) | instid1(VALU_DEP_1)
	v_or_b32_e32 v18, s39, v20
	v_cmp_ne_u64_e32 vcc_lo, 0, v[17:18]
                                        ; implicit-def: $vgpr17_vgpr18
	s_and_saveexec_b32 s0, vcc_lo
	s_delay_alu instid0(SALU_CYCLE_1)
	s_xor_b32 s1, exec_lo, s0
	s_cbranch_execz .LBB21_197
; %bb.196:
	v_cvt_f32_u32_e32 v17, s38
	v_cvt_f32_u32_e32 v18, s39
	s_sub_u32 s0, 0, s38
	s_subb_u32 s4, 0, s39
	s_delay_alu instid0(VALU_DEP_1) | instskip(NEXT) | instid1(VALU_DEP_1)
	v_fmamk_f32 v17, v18, 0x4f800000, v17
	v_rcp_f32_e32 v17, v17
	s_waitcnt_depctr 0xfff
	v_mul_f32_e32 v17, 0x5f7ffffc, v17
	s_delay_alu instid0(VALU_DEP_1) | instskip(NEXT) | instid1(VALU_DEP_1)
	v_mul_f32_e32 v18, 0x2f800000, v17
	v_trunc_f32_e32 v18, v18
	s_delay_alu instid0(VALU_DEP_1) | instskip(SKIP_1) | instid1(VALU_DEP_2)
	v_fmamk_f32 v17, v18, 0xcf800000, v17
	v_cvt_u32_f32_e32 v18, v18
	v_cvt_u32_f32_e32 v17, v17
	s_delay_alu instid0(VALU_DEP_2) | instskip(NEXT) | instid1(VALU_DEP_2)
	v_mul_lo_u32 v21, s0, v18
	v_mul_hi_u32 v22, s0, v17
	v_mul_lo_u32 v23, s4, v17
	s_delay_alu instid0(VALU_DEP_2) | instskip(SKIP_1) | instid1(VALU_DEP_2)
	v_add_nc_u32_e32 v21, v22, v21
	v_mul_lo_u32 v22, s0, v17
	v_add_nc_u32_e32 v21, v21, v23
	s_delay_alu instid0(VALU_DEP_2) | instskip(NEXT) | instid1(VALU_DEP_2)
	v_mul_hi_u32 v23, v17, v22
	v_mul_lo_u32 v24, v17, v21
	v_mul_hi_u32 v25, v17, v21
	v_mul_hi_u32 v26, v18, v22
	v_mul_lo_u32 v22, v18, v22
	v_mul_hi_u32 v27, v18, v21
	v_mul_lo_u32 v21, v18, v21
	v_add_co_u32 v23, vcc_lo, v23, v24
	v_add_co_ci_u32_e32 v24, vcc_lo, 0, v25, vcc_lo
	s_delay_alu instid0(VALU_DEP_2) | instskip(NEXT) | instid1(VALU_DEP_2)
	v_add_co_u32 v22, vcc_lo, v23, v22
	v_add_co_ci_u32_e32 v22, vcc_lo, v24, v26, vcc_lo
	v_add_co_ci_u32_e32 v23, vcc_lo, 0, v27, vcc_lo
	s_delay_alu instid0(VALU_DEP_2) | instskip(NEXT) | instid1(VALU_DEP_2)
	v_add_co_u32 v21, vcc_lo, v22, v21
	v_add_co_ci_u32_e32 v22, vcc_lo, 0, v23, vcc_lo
	s_delay_alu instid0(VALU_DEP_2) | instskip(NEXT) | instid1(VALU_DEP_2)
	v_add_co_u32 v17, vcc_lo, v17, v21
	v_add_co_ci_u32_e32 v18, vcc_lo, v18, v22, vcc_lo
	s_delay_alu instid0(VALU_DEP_2) | instskip(SKIP_1) | instid1(VALU_DEP_3)
	v_mul_hi_u32 v21, s0, v17
	v_mul_lo_u32 v23, s4, v17
	v_mul_lo_u32 v22, s0, v18
	s_delay_alu instid0(VALU_DEP_1) | instskip(SKIP_1) | instid1(VALU_DEP_2)
	v_add_nc_u32_e32 v21, v21, v22
	v_mul_lo_u32 v22, s0, v17
	v_add_nc_u32_e32 v21, v21, v23
	s_delay_alu instid0(VALU_DEP_2) | instskip(NEXT) | instid1(VALU_DEP_2)
	v_mul_hi_u32 v23, v17, v22
	v_mul_lo_u32 v24, v17, v21
	v_mul_hi_u32 v25, v17, v21
	v_mul_hi_u32 v26, v18, v22
	v_mul_lo_u32 v22, v18, v22
	v_mul_hi_u32 v27, v18, v21
	v_mul_lo_u32 v21, v18, v21
	v_add_co_u32 v23, vcc_lo, v23, v24
	v_add_co_ci_u32_e32 v24, vcc_lo, 0, v25, vcc_lo
	s_delay_alu instid0(VALU_DEP_2) | instskip(NEXT) | instid1(VALU_DEP_2)
	v_add_co_u32 v22, vcc_lo, v23, v22
	v_add_co_ci_u32_e32 v22, vcc_lo, v24, v26, vcc_lo
	v_add_co_ci_u32_e32 v23, vcc_lo, 0, v27, vcc_lo
	s_delay_alu instid0(VALU_DEP_2) | instskip(NEXT) | instid1(VALU_DEP_2)
	v_add_co_u32 v21, vcc_lo, v22, v21
	v_add_co_ci_u32_e32 v22, vcc_lo, 0, v23, vcc_lo
	s_delay_alu instid0(VALU_DEP_2) | instskip(NEXT) | instid1(VALU_DEP_2)
	v_add_co_u32 v23, vcc_lo, v17, v21
	v_add_co_ci_u32_e32 v25, vcc_lo, v18, v22, vcc_lo
	s_delay_alu instid0(VALU_DEP_2) | instskip(SKIP_1) | instid1(VALU_DEP_3)
	v_mul_hi_u32 v26, v19, v23
	v_mad_u64_u32 v[21:22], null, v20, v23, 0
	v_mad_u64_u32 v[17:18], null, v19, v25, 0
	;; [unrolled: 1-line block ×3, first 2 shown]
	s_delay_alu instid0(VALU_DEP_2) | instskip(NEXT) | instid1(VALU_DEP_3)
	v_add_co_u32 v17, vcc_lo, v26, v17
	v_add_co_ci_u32_e32 v18, vcc_lo, 0, v18, vcc_lo
	s_delay_alu instid0(VALU_DEP_2) | instskip(NEXT) | instid1(VALU_DEP_2)
	v_add_co_u32 v17, vcc_lo, v17, v21
	v_add_co_ci_u32_e32 v17, vcc_lo, v18, v22, vcc_lo
	v_add_co_ci_u32_e32 v18, vcc_lo, 0, v24, vcc_lo
	s_delay_alu instid0(VALU_DEP_2) | instskip(NEXT) | instid1(VALU_DEP_2)
	v_add_co_u32 v21, vcc_lo, v17, v23
	v_add_co_ci_u32_e32 v22, vcc_lo, 0, v18, vcc_lo
	s_delay_alu instid0(VALU_DEP_2) | instskip(SKIP_1) | instid1(VALU_DEP_3)
	v_mul_lo_u32 v23, s39, v21
	v_mad_u64_u32 v[17:18], null, s38, v21, 0
	v_mul_lo_u32 v24, s38, v22
	s_delay_alu instid0(VALU_DEP_2) | instskip(NEXT) | instid1(VALU_DEP_2)
	v_sub_co_u32 v17, vcc_lo, v19, v17
	v_add3_u32 v18, v18, v24, v23
	s_delay_alu instid0(VALU_DEP_1) | instskip(NEXT) | instid1(VALU_DEP_1)
	v_sub_nc_u32_e32 v23, v20, v18
	v_subrev_co_ci_u32_e64 v19, s0, s39, v23, vcc_lo
	v_add_co_u32 v23, s0, v21, 2
	s_delay_alu instid0(VALU_DEP_1) | instskip(SKIP_3) | instid1(VALU_DEP_3)
	v_add_co_ci_u32_e64 v24, s0, 0, v22, s0
	v_sub_co_u32 v25, s0, v17, s38
	v_sub_co_ci_u32_e32 v18, vcc_lo, v20, v18, vcc_lo
	v_subrev_co_ci_u32_e64 v19, s0, 0, v19, s0
	v_cmp_le_u32_e32 vcc_lo, s38, v25
	s_delay_alu instid0(VALU_DEP_3) | instskip(SKIP_1) | instid1(VALU_DEP_4)
	v_cmp_eq_u32_e64 s0, s39, v18
	v_cndmask_b32_e64 v20, 0, -1, vcc_lo
	v_cmp_le_u32_e32 vcc_lo, s39, v19
	v_cndmask_b32_e64 v25, 0, -1, vcc_lo
	v_cmp_le_u32_e32 vcc_lo, s38, v17
	;; [unrolled: 2-line block ×3, first 2 shown]
	v_cndmask_b32_e64 v26, 0, -1, vcc_lo
	v_cmp_eq_u32_e32 vcc_lo, s39, v19
	s_delay_alu instid0(VALU_DEP_2) | instskip(SKIP_3) | instid1(VALU_DEP_3)
	v_cndmask_b32_e64 v17, v26, v17, s0
	v_cndmask_b32_e32 v19, v25, v20, vcc_lo
	v_add_co_u32 v20, vcc_lo, v21, 1
	v_add_co_ci_u32_e32 v25, vcc_lo, 0, v22, vcc_lo
	v_cmp_ne_u32_e32 vcc_lo, 0, v19
	s_delay_alu instid0(VALU_DEP_2) | instskip(SKIP_1) | instid1(VALU_DEP_2)
	v_dual_cndmask_b32 v18, v25, v24 :: v_dual_cndmask_b32 v19, v20, v23
	v_cmp_ne_u32_e32 vcc_lo, 0, v17
	v_dual_cndmask_b32 v18, v22, v18 :: v_dual_cndmask_b32 v17, v21, v19
                                        ; implicit-def: $vgpr19
.LBB21_197:
	s_and_not1_saveexec_b32 s0, s1
	s_cbranch_execz .LBB21_199
; %bb.198:
	v_cvt_f32_u32_e32 v17, s38
	s_sub_i32 s1, 0, s38
	s_delay_alu instid0(VALU_DEP_1) | instskip(SKIP_2) | instid1(VALU_DEP_1)
	v_rcp_iflag_f32_e32 v17, v17
	s_waitcnt_depctr 0xfff
	v_mul_f32_e32 v17, 0x4f7ffffe, v17
	v_cvt_u32_f32_e32 v17, v17
	s_delay_alu instid0(VALU_DEP_1) | instskip(NEXT) | instid1(VALU_DEP_1)
	v_mul_lo_u32 v18, s1, v17
	v_mul_hi_u32 v18, v17, v18
	s_delay_alu instid0(VALU_DEP_1) | instskip(NEXT) | instid1(VALU_DEP_1)
	v_add_nc_u32_e32 v17, v17, v18
	v_mul_hi_u32 v17, v19, v17
	s_delay_alu instid0(VALU_DEP_1) | instskip(NEXT) | instid1(VALU_DEP_1)
	v_mul_lo_u32 v18, v17, s38
	v_sub_nc_u32_e32 v18, v19, v18
	v_add_nc_u32_e32 v19, 1, v17
	s_delay_alu instid0(VALU_DEP_2) | instskip(SKIP_1) | instid1(VALU_DEP_2)
	v_subrev_nc_u32_e32 v20, s38, v18
	v_cmp_le_u32_e32 vcc_lo, s38, v18
	v_dual_cndmask_b32 v18, v18, v20 :: v_dual_cndmask_b32 v17, v17, v19
	s_delay_alu instid0(VALU_DEP_1) | instskip(NEXT) | instid1(VALU_DEP_2)
	v_cmp_le_u32_e32 vcc_lo, s38, v18
	v_dual_mov_b32 v18, 0 :: v_dual_add_nc_u32 v19, 1, v17
	s_delay_alu instid0(VALU_DEP_1)
	v_cndmask_b32_e32 v17, v17, v19, vcc_lo
.LBB21_199:
	s_or_b32 exec_lo, exec_lo, s0
	v_add_co_u32 v21, vcc_lo, 0x900, v31
	v_add_co_ci_u32_e32 v22, vcc_lo, 0, v32, vcc_lo
	v_mov_b32_e32 v19, 0
	s_delay_alu instid0(VALU_DEP_2) | instskip(NEXT) | instid1(VALU_DEP_1)
	v_or_b32_e32 v20, s39, v22
	v_cmp_ne_u64_e32 vcc_lo, 0, v[19:20]
                                        ; implicit-def: $vgpr19_vgpr20
	s_and_saveexec_b32 s0, vcc_lo
	s_delay_alu instid0(SALU_CYCLE_1)
	s_xor_b32 s1, exec_lo, s0
	s_cbranch_execz .LBB21_201
; %bb.200:
	v_cvt_f32_u32_e32 v19, s38
	v_cvt_f32_u32_e32 v20, s39
	s_sub_u32 s0, 0, s38
	s_subb_u32 s4, 0, s39
	s_delay_alu instid0(VALU_DEP_1) | instskip(NEXT) | instid1(VALU_DEP_1)
	v_fmamk_f32 v19, v20, 0x4f800000, v19
	v_rcp_f32_e32 v19, v19
	s_waitcnt_depctr 0xfff
	v_mul_f32_e32 v19, 0x5f7ffffc, v19
	s_delay_alu instid0(VALU_DEP_1) | instskip(NEXT) | instid1(VALU_DEP_1)
	v_mul_f32_e32 v20, 0x2f800000, v19
	v_trunc_f32_e32 v20, v20
	s_delay_alu instid0(VALU_DEP_1) | instskip(SKIP_1) | instid1(VALU_DEP_2)
	v_fmamk_f32 v19, v20, 0xcf800000, v19
	v_cvt_u32_f32_e32 v20, v20
	v_cvt_u32_f32_e32 v19, v19
	s_delay_alu instid0(VALU_DEP_2) | instskip(NEXT) | instid1(VALU_DEP_2)
	v_mul_lo_u32 v23, s0, v20
	v_mul_hi_u32 v24, s0, v19
	v_mul_lo_u32 v25, s4, v19
	s_delay_alu instid0(VALU_DEP_2) | instskip(SKIP_1) | instid1(VALU_DEP_2)
	v_add_nc_u32_e32 v23, v24, v23
	v_mul_lo_u32 v24, s0, v19
	v_add_nc_u32_e32 v23, v23, v25
	s_delay_alu instid0(VALU_DEP_2) | instskip(NEXT) | instid1(VALU_DEP_2)
	v_mul_hi_u32 v25, v19, v24
	v_mul_lo_u32 v26, v19, v23
	v_mul_hi_u32 v27, v19, v23
	v_mul_hi_u32 v28, v20, v24
	v_mul_lo_u32 v24, v20, v24
	v_mul_hi_u32 v29, v20, v23
	v_mul_lo_u32 v23, v20, v23
	v_add_co_u32 v25, vcc_lo, v25, v26
	v_add_co_ci_u32_e32 v26, vcc_lo, 0, v27, vcc_lo
	s_delay_alu instid0(VALU_DEP_2) | instskip(NEXT) | instid1(VALU_DEP_2)
	v_add_co_u32 v24, vcc_lo, v25, v24
	v_add_co_ci_u32_e32 v24, vcc_lo, v26, v28, vcc_lo
	v_add_co_ci_u32_e32 v25, vcc_lo, 0, v29, vcc_lo
	s_delay_alu instid0(VALU_DEP_2) | instskip(NEXT) | instid1(VALU_DEP_2)
	v_add_co_u32 v23, vcc_lo, v24, v23
	v_add_co_ci_u32_e32 v24, vcc_lo, 0, v25, vcc_lo
	s_delay_alu instid0(VALU_DEP_2) | instskip(NEXT) | instid1(VALU_DEP_2)
	v_add_co_u32 v19, vcc_lo, v19, v23
	v_add_co_ci_u32_e32 v20, vcc_lo, v20, v24, vcc_lo
	s_delay_alu instid0(VALU_DEP_2) | instskip(SKIP_1) | instid1(VALU_DEP_3)
	v_mul_hi_u32 v23, s0, v19
	v_mul_lo_u32 v25, s4, v19
	v_mul_lo_u32 v24, s0, v20
	s_delay_alu instid0(VALU_DEP_1) | instskip(SKIP_1) | instid1(VALU_DEP_2)
	v_add_nc_u32_e32 v23, v23, v24
	v_mul_lo_u32 v24, s0, v19
	v_add_nc_u32_e32 v23, v23, v25
	s_delay_alu instid0(VALU_DEP_2) | instskip(NEXT) | instid1(VALU_DEP_2)
	v_mul_hi_u32 v25, v19, v24
	v_mul_lo_u32 v26, v19, v23
	v_mul_hi_u32 v27, v19, v23
	v_mul_hi_u32 v28, v20, v24
	v_mul_lo_u32 v24, v20, v24
	v_mul_hi_u32 v29, v20, v23
	v_mul_lo_u32 v23, v20, v23
	v_add_co_u32 v25, vcc_lo, v25, v26
	v_add_co_ci_u32_e32 v26, vcc_lo, 0, v27, vcc_lo
	s_delay_alu instid0(VALU_DEP_2) | instskip(NEXT) | instid1(VALU_DEP_2)
	v_add_co_u32 v24, vcc_lo, v25, v24
	v_add_co_ci_u32_e32 v24, vcc_lo, v26, v28, vcc_lo
	v_add_co_ci_u32_e32 v25, vcc_lo, 0, v29, vcc_lo
	s_delay_alu instid0(VALU_DEP_2) | instskip(NEXT) | instid1(VALU_DEP_2)
	v_add_co_u32 v23, vcc_lo, v24, v23
	v_add_co_ci_u32_e32 v24, vcc_lo, 0, v25, vcc_lo
	s_delay_alu instid0(VALU_DEP_2) | instskip(NEXT) | instid1(VALU_DEP_2)
	v_add_co_u32 v25, vcc_lo, v19, v23
	v_add_co_ci_u32_e32 v27, vcc_lo, v20, v24, vcc_lo
	s_delay_alu instid0(VALU_DEP_2) | instskip(SKIP_1) | instid1(VALU_DEP_3)
	v_mul_hi_u32 v28, v21, v25
	v_mad_u64_u32 v[23:24], null, v22, v25, 0
	v_mad_u64_u32 v[19:20], null, v21, v27, 0
	;; [unrolled: 1-line block ×3, first 2 shown]
	s_delay_alu instid0(VALU_DEP_2) | instskip(NEXT) | instid1(VALU_DEP_3)
	v_add_co_u32 v19, vcc_lo, v28, v19
	v_add_co_ci_u32_e32 v20, vcc_lo, 0, v20, vcc_lo
	s_delay_alu instid0(VALU_DEP_2) | instskip(NEXT) | instid1(VALU_DEP_2)
	v_add_co_u32 v19, vcc_lo, v19, v23
	v_add_co_ci_u32_e32 v19, vcc_lo, v20, v24, vcc_lo
	v_add_co_ci_u32_e32 v20, vcc_lo, 0, v26, vcc_lo
	s_delay_alu instid0(VALU_DEP_2) | instskip(NEXT) | instid1(VALU_DEP_2)
	v_add_co_u32 v23, vcc_lo, v19, v25
	v_add_co_ci_u32_e32 v24, vcc_lo, 0, v20, vcc_lo
	s_delay_alu instid0(VALU_DEP_2) | instskip(SKIP_1) | instid1(VALU_DEP_3)
	v_mul_lo_u32 v25, s39, v23
	v_mad_u64_u32 v[19:20], null, s38, v23, 0
	v_mul_lo_u32 v26, s38, v24
	s_delay_alu instid0(VALU_DEP_2) | instskip(NEXT) | instid1(VALU_DEP_2)
	v_sub_co_u32 v19, vcc_lo, v21, v19
	v_add3_u32 v20, v20, v26, v25
	s_delay_alu instid0(VALU_DEP_1) | instskip(NEXT) | instid1(VALU_DEP_1)
	v_sub_nc_u32_e32 v25, v22, v20
	v_subrev_co_ci_u32_e64 v21, s0, s39, v25, vcc_lo
	v_add_co_u32 v25, s0, v23, 2
	s_delay_alu instid0(VALU_DEP_1) | instskip(SKIP_3) | instid1(VALU_DEP_3)
	v_add_co_ci_u32_e64 v26, s0, 0, v24, s0
	v_sub_co_u32 v27, s0, v19, s38
	v_sub_co_ci_u32_e32 v20, vcc_lo, v22, v20, vcc_lo
	v_subrev_co_ci_u32_e64 v21, s0, 0, v21, s0
	v_cmp_le_u32_e32 vcc_lo, s38, v27
	s_delay_alu instid0(VALU_DEP_3) | instskip(SKIP_1) | instid1(VALU_DEP_4)
	v_cmp_eq_u32_e64 s0, s39, v20
	v_cndmask_b32_e64 v22, 0, -1, vcc_lo
	v_cmp_le_u32_e32 vcc_lo, s39, v21
	v_cndmask_b32_e64 v27, 0, -1, vcc_lo
	v_cmp_le_u32_e32 vcc_lo, s38, v19
	;; [unrolled: 2-line block ×3, first 2 shown]
	v_cndmask_b32_e64 v28, 0, -1, vcc_lo
	v_cmp_eq_u32_e32 vcc_lo, s39, v21
	s_delay_alu instid0(VALU_DEP_2) | instskip(SKIP_3) | instid1(VALU_DEP_3)
	v_cndmask_b32_e64 v19, v28, v19, s0
	v_cndmask_b32_e32 v21, v27, v22, vcc_lo
	v_add_co_u32 v22, vcc_lo, v23, 1
	v_add_co_ci_u32_e32 v27, vcc_lo, 0, v24, vcc_lo
	v_cmp_ne_u32_e32 vcc_lo, 0, v21
	s_delay_alu instid0(VALU_DEP_2) | instskip(SKIP_1) | instid1(VALU_DEP_2)
	v_dual_cndmask_b32 v20, v27, v26 :: v_dual_cndmask_b32 v21, v22, v25
	v_cmp_ne_u32_e32 vcc_lo, 0, v19
	v_dual_cndmask_b32 v20, v24, v20 :: v_dual_cndmask_b32 v19, v23, v21
                                        ; implicit-def: $vgpr21
.LBB21_201:
	s_and_not1_saveexec_b32 s0, s1
	s_cbranch_execz .LBB21_203
; %bb.202:
	v_cvt_f32_u32_e32 v19, s38
	s_sub_i32 s1, 0, s38
	s_delay_alu instid0(VALU_DEP_1) | instskip(SKIP_2) | instid1(VALU_DEP_1)
	v_rcp_iflag_f32_e32 v19, v19
	s_waitcnt_depctr 0xfff
	v_mul_f32_e32 v19, 0x4f7ffffe, v19
	v_cvt_u32_f32_e32 v19, v19
	s_delay_alu instid0(VALU_DEP_1) | instskip(NEXT) | instid1(VALU_DEP_1)
	v_mul_lo_u32 v20, s1, v19
	v_mul_hi_u32 v20, v19, v20
	s_delay_alu instid0(VALU_DEP_1) | instskip(NEXT) | instid1(VALU_DEP_1)
	v_add_nc_u32_e32 v19, v19, v20
	v_mul_hi_u32 v19, v21, v19
	s_delay_alu instid0(VALU_DEP_1) | instskip(NEXT) | instid1(VALU_DEP_1)
	v_mul_lo_u32 v20, v19, s38
	v_sub_nc_u32_e32 v20, v21, v20
	v_add_nc_u32_e32 v21, 1, v19
	s_delay_alu instid0(VALU_DEP_2) | instskip(SKIP_1) | instid1(VALU_DEP_2)
	v_subrev_nc_u32_e32 v22, s38, v20
	v_cmp_le_u32_e32 vcc_lo, s38, v20
	v_dual_cndmask_b32 v20, v20, v22 :: v_dual_cndmask_b32 v19, v19, v21
	s_delay_alu instid0(VALU_DEP_1) | instskip(NEXT) | instid1(VALU_DEP_2)
	v_cmp_le_u32_e32 vcc_lo, s38, v20
	v_dual_mov_b32 v20, 0 :: v_dual_add_nc_u32 v21, 1, v19
	s_delay_alu instid0(VALU_DEP_1)
	v_cndmask_b32_e32 v19, v19, v21, vcc_lo
.LBB21_203:
	s_or_b32 exec_lo, exec_lo, s0
	v_add_co_u32 v23, vcc_lo, 0xa00, v31
	v_add_co_ci_u32_e32 v24, vcc_lo, 0, v32, vcc_lo
	v_mov_b32_e32 v21, 0
	s_delay_alu instid0(VALU_DEP_2) | instskip(NEXT) | instid1(VALU_DEP_1)
	v_or_b32_e32 v22, s39, v24
	v_cmp_ne_u64_e32 vcc_lo, 0, v[21:22]
                                        ; implicit-def: $vgpr21_vgpr22
	s_and_saveexec_b32 s0, vcc_lo
	s_delay_alu instid0(SALU_CYCLE_1)
	s_xor_b32 s1, exec_lo, s0
	s_cbranch_execz .LBB21_205
; %bb.204:
	v_cvt_f32_u32_e32 v21, s38
	v_cvt_f32_u32_e32 v22, s39
	s_sub_u32 s0, 0, s38
	s_subb_u32 s4, 0, s39
	s_delay_alu instid0(VALU_DEP_1) | instskip(NEXT) | instid1(VALU_DEP_1)
	v_fmamk_f32 v21, v22, 0x4f800000, v21
	v_rcp_f32_e32 v21, v21
	s_waitcnt_depctr 0xfff
	v_mul_f32_e32 v21, 0x5f7ffffc, v21
	s_delay_alu instid0(VALU_DEP_1) | instskip(NEXT) | instid1(VALU_DEP_1)
	v_mul_f32_e32 v22, 0x2f800000, v21
	v_trunc_f32_e32 v22, v22
	s_delay_alu instid0(VALU_DEP_1) | instskip(SKIP_1) | instid1(VALU_DEP_2)
	v_fmamk_f32 v21, v22, 0xcf800000, v21
	v_cvt_u32_f32_e32 v22, v22
	v_cvt_u32_f32_e32 v21, v21
	s_delay_alu instid0(VALU_DEP_2) | instskip(NEXT) | instid1(VALU_DEP_2)
	v_mul_lo_u32 v25, s0, v22
	v_mul_hi_u32 v26, s0, v21
	v_mul_lo_u32 v27, s4, v21
	s_delay_alu instid0(VALU_DEP_2) | instskip(SKIP_1) | instid1(VALU_DEP_2)
	v_add_nc_u32_e32 v25, v26, v25
	v_mul_lo_u32 v26, s0, v21
	v_add_nc_u32_e32 v25, v25, v27
	s_delay_alu instid0(VALU_DEP_2) | instskip(NEXT) | instid1(VALU_DEP_2)
	v_mul_hi_u32 v27, v21, v26
	v_mul_lo_u32 v28, v21, v25
	v_mul_hi_u32 v29, v21, v25
	v_mul_hi_u32 v30, v22, v26
	v_mul_lo_u32 v26, v22, v26
	v_mul_hi_u32 v33, v22, v25
	v_mul_lo_u32 v25, v22, v25
	v_add_co_u32 v27, vcc_lo, v27, v28
	v_add_co_ci_u32_e32 v28, vcc_lo, 0, v29, vcc_lo
	s_delay_alu instid0(VALU_DEP_2) | instskip(NEXT) | instid1(VALU_DEP_2)
	v_add_co_u32 v26, vcc_lo, v27, v26
	v_add_co_ci_u32_e32 v26, vcc_lo, v28, v30, vcc_lo
	v_add_co_ci_u32_e32 v27, vcc_lo, 0, v33, vcc_lo
	s_delay_alu instid0(VALU_DEP_2) | instskip(NEXT) | instid1(VALU_DEP_2)
	v_add_co_u32 v25, vcc_lo, v26, v25
	v_add_co_ci_u32_e32 v26, vcc_lo, 0, v27, vcc_lo
	s_delay_alu instid0(VALU_DEP_2) | instskip(NEXT) | instid1(VALU_DEP_2)
	v_add_co_u32 v21, vcc_lo, v21, v25
	v_add_co_ci_u32_e32 v22, vcc_lo, v22, v26, vcc_lo
	s_delay_alu instid0(VALU_DEP_2) | instskip(SKIP_1) | instid1(VALU_DEP_3)
	v_mul_hi_u32 v25, s0, v21
	v_mul_lo_u32 v27, s4, v21
	v_mul_lo_u32 v26, s0, v22
	s_delay_alu instid0(VALU_DEP_1) | instskip(SKIP_1) | instid1(VALU_DEP_2)
	v_add_nc_u32_e32 v25, v25, v26
	v_mul_lo_u32 v26, s0, v21
	v_add_nc_u32_e32 v25, v25, v27
	s_delay_alu instid0(VALU_DEP_2) | instskip(NEXT) | instid1(VALU_DEP_2)
	v_mul_hi_u32 v27, v21, v26
	v_mul_lo_u32 v28, v21, v25
	v_mul_hi_u32 v29, v21, v25
	v_mul_hi_u32 v30, v22, v26
	v_mul_lo_u32 v26, v22, v26
	v_mul_hi_u32 v33, v22, v25
	v_mul_lo_u32 v25, v22, v25
	v_add_co_u32 v27, vcc_lo, v27, v28
	v_add_co_ci_u32_e32 v28, vcc_lo, 0, v29, vcc_lo
	s_delay_alu instid0(VALU_DEP_2) | instskip(NEXT) | instid1(VALU_DEP_2)
	v_add_co_u32 v26, vcc_lo, v27, v26
	v_add_co_ci_u32_e32 v26, vcc_lo, v28, v30, vcc_lo
	v_add_co_ci_u32_e32 v27, vcc_lo, 0, v33, vcc_lo
	s_delay_alu instid0(VALU_DEP_2) | instskip(NEXT) | instid1(VALU_DEP_2)
	v_add_co_u32 v25, vcc_lo, v26, v25
	v_add_co_ci_u32_e32 v26, vcc_lo, 0, v27, vcc_lo
	s_delay_alu instid0(VALU_DEP_2) | instskip(NEXT) | instid1(VALU_DEP_2)
	v_add_co_u32 v27, vcc_lo, v21, v25
	v_add_co_ci_u32_e32 v29, vcc_lo, v22, v26, vcc_lo
	s_delay_alu instid0(VALU_DEP_2) | instskip(SKIP_1) | instid1(VALU_DEP_3)
	v_mul_hi_u32 v30, v23, v27
	v_mad_u64_u32 v[25:26], null, v24, v27, 0
	v_mad_u64_u32 v[21:22], null, v23, v29, 0
	;; [unrolled: 1-line block ×3, first 2 shown]
	s_delay_alu instid0(VALU_DEP_2) | instskip(NEXT) | instid1(VALU_DEP_3)
	v_add_co_u32 v21, vcc_lo, v30, v21
	v_add_co_ci_u32_e32 v22, vcc_lo, 0, v22, vcc_lo
	s_delay_alu instid0(VALU_DEP_2) | instskip(NEXT) | instid1(VALU_DEP_2)
	v_add_co_u32 v21, vcc_lo, v21, v25
	v_add_co_ci_u32_e32 v21, vcc_lo, v22, v26, vcc_lo
	v_add_co_ci_u32_e32 v22, vcc_lo, 0, v28, vcc_lo
	s_delay_alu instid0(VALU_DEP_2) | instskip(NEXT) | instid1(VALU_DEP_2)
	v_add_co_u32 v25, vcc_lo, v21, v27
	v_add_co_ci_u32_e32 v26, vcc_lo, 0, v22, vcc_lo
	s_delay_alu instid0(VALU_DEP_2) | instskip(SKIP_1) | instid1(VALU_DEP_3)
	v_mul_lo_u32 v27, s39, v25
	v_mad_u64_u32 v[21:22], null, s38, v25, 0
	v_mul_lo_u32 v28, s38, v26
	s_delay_alu instid0(VALU_DEP_2) | instskip(NEXT) | instid1(VALU_DEP_2)
	v_sub_co_u32 v21, vcc_lo, v23, v21
	v_add3_u32 v22, v22, v28, v27
	s_delay_alu instid0(VALU_DEP_1) | instskip(NEXT) | instid1(VALU_DEP_1)
	v_sub_nc_u32_e32 v27, v24, v22
	v_subrev_co_ci_u32_e64 v23, s0, s39, v27, vcc_lo
	v_add_co_u32 v27, s0, v25, 2
	s_delay_alu instid0(VALU_DEP_1) | instskip(SKIP_3) | instid1(VALU_DEP_3)
	v_add_co_ci_u32_e64 v28, s0, 0, v26, s0
	v_sub_co_u32 v29, s0, v21, s38
	v_sub_co_ci_u32_e32 v22, vcc_lo, v24, v22, vcc_lo
	v_subrev_co_ci_u32_e64 v23, s0, 0, v23, s0
	v_cmp_le_u32_e32 vcc_lo, s38, v29
	s_delay_alu instid0(VALU_DEP_3) | instskip(SKIP_1) | instid1(VALU_DEP_4)
	v_cmp_eq_u32_e64 s0, s39, v22
	v_cndmask_b32_e64 v24, 0, -1, vcc_lo
	v_cmp_le_u32_e32 vcc_lo, s39, v23
	v_cndmask_b32_e64 v29, 0, -1, vcc_lo
	v_cmp_le_u32_e32 vcc_lo, s38, v21
	;; [unrolled: 2-line block ×3, first 2 shown]
	v_cndmask_b32_e64 v30, 0, -1, vcc_lo
	v_cmp_eq_u32_e32 vcc_lo, s39, v23
	s_delay_alu instid0(VALU_DEP_2) | instskip(SKIP_3) | instid1(VALU_DEP_3)
	v_cndmask_b32_e64 v21, v30, v21, s0
	v_cndmask_b32_e32 v23, v29, v24, vcc_lo
	v_add_co_u32 v24, vcc_lo, v25, 1
	v_add_co_ci_u32_e32 v29, vcc_lo, 0, v26, vcc_lo
	v_cmp_ne_u32_e32 vcc_lo, 0, v23
	s_delay_alu instid0(VALU_DEP_2) | instskip(SKIP_1) | instid1(VALU_DEP_2)
	v_dual_cndmask_b32 v22, v29, v28 :: v_dual_cndmask_b32 v23, v24, v27
	v_cmp_ne_u32_e32 vcc_lo, 0, v21
	v_dual_cndmask_b32 v22, v26, v22 :: v_dual_cndmask_b32 v21, v25, v23
                                        ; implicit-def: $vgpr23
.LBB21_205:
	s_and_not1_saveexec_b32 s0, s1
	s_cbranch_execz .LBB21_207
; %bb.206:
	v_cvt_f32_u32_e32 v21, s38
	s_sub_i32 s1, 0, s38
	s_delay_alu instid0(VALU_DEP_1) | instskip(SKIP_2) | instid1(VALU_DEP_1)
	v_rcp_iflag_f32_e32 v21, v21
	s_waitcnt_depctr 0xfff
	v_mul_f32_e32 v21, 0x4f7ffffe, v21
	v_cvt_u32_f32_e32 v21, v21
	s_delay_alu instid0(VALU_DEP_1) | instskip(NEXT) | instid1(VALU_DEP_1)
	v_mul_lo_u32 v22, s1, v21
	v_mul_hi_u32 v22, v21, v22
	s_delay_alu instid0(VALU_DEP_1) | instskip(NEXT) | instid1(VALU_DEP_1)
	v_add_nc_u32_e32 v21, v21, v22
	v_mul_hi_u32 v21, v23, v21
	s_delay_alu instid0(VALU_DEP_1) | instskip(NEXT) | instid1(VALU_DEP_1)
	v_mul_lo_u32 v22, v21, s38
	v_sub_nc_u32_e32 v22, v23, v22
	v_add_nc_u32_e32 v23, 1, v21
	s_delay_alu instid0(VALU_DEP_2) | instskip(SKIP_1) | instid1(VALU_DEP_2)
	v_subrev_nc_u32_e32 v24, s38, v22
	v_cmp_le_u32_e32 vcc_lo, s38, v22
	v_dual_cndmask_b32 v22, v22, v24 :: v_dual_cndmask_b32 v21, v21, v23
	s_delay_alu instid0(VALU_DEP_1) | instskip(NEXT) | instid1(VALU_DEP_2)
	v_cmp_le_u32_e32 vcc_lo, s38, v22
	v_dual_mov_b32 v22, 0 :: v_dual_add_nc_u32 v23, 1, v21
	s_delay_alu instid0(VALU_DEP_1)
	v_cndmask_b32_e32 v21, v21, v23, vcc_lo
.LBB21_207:
	s_or_b32 exec_lo, exec_lo, s0
	v_add_co_u32 v25, vcc_lo, 0xb00, v31
	v_add_co_ci_u32_e32 v26, vcc_lo, 0, v32, vcc_lo
	v_mov_b32_e32 v23, 0
	s_delay_alu instid0(VALU_DEP_2) | instskip(NEXT) | instid1(VALU_DEP_1)
	v_or_b32_e32 v24, s39, v26
	v_cmp_ne_u64_e32 vcc_lo, 0, v[23:24]
                                        ; implicit-def: $vgpr23_vgpr24
	s_and_saveexec_b32 s0, vcc_lo
	s_delay_alu instid0(SALU_CYCLE_1)
	s_xor_b32 s1, exec_lo, s0
	s_cbranch_execz .LBB21_209
; %bb.208:
	v_cvt_f32_u32_e32 v23, s38
	v_cvt_f32_u32_e32 v24, s39
	s_sub_u32 s0, 0, s38
	s_subb_u32 s4, 0, s39
	s_delay_alu instid0(VALU_DEP_1) | instskip(NEXT) | instid1(VALU_DEP_1)
	v_fmamk_f32 v23, v24, 0x4f800000, v23
	v_rcp_f32_e32 v23, v23
	s_waitcnt_depctr 0xfff
	v_mul_f32_e32 v23, 0x5f7ffffc, v23
	s_delay_alu instid0(VALU_DEP_1) | instskip(NEXT) | instid1(VALU_DEP_1)
	v_mul_f32_e32 v24, 0x2f800000, v23
	v_trunc_f32_e32 v24, v24
	s_delay_alu instid0(VALU_DEP_1) | instskip(SKIP_1) | instid1(VALU_DEP_2)
	v_fmamk_f32 v23, v24, 0xcf800000, v23
	v_cvt_u32_f32_e32 v24, v24
	v_cvt_u32_f32_e32 v23, v23
	s_delay_alu instid0(VALU_DEP_2) | instskip(NEXT) | instid1(VALU_DEP_2)
	v_mul_lo_u32 v27, s0, v24
	v_mul_hi_u32 v28, s0, v23
	v_mul_lo_u32 v29, s4, v23
	s_delay_alu instid0(VALU_DEP_2) | instskip(SKIP_1) | instid1(VALU_DEP_2)
	v_add_nc_u32_e32 v27, v28, v27
	v_mul_lo_u32 v28, s0, v23
	v_add_nc_u32_e32 v27, v27, v29
	s_delay_alu instid0(VALU_DEP_2) | instskip(NEXT) | instid1(VALU_DEP_2)
	v_mul_hi_u32 v29, v23, v28
	v_mul_lo_u32 v30, v23, v27
	v_mul_hi_u32 v33, v23, v27
	v_mul_hi_u32 v34, v24, v28
	v_mul_lo_u32 v28, v24, v28
	s_waitcnt lgkmcnt(0)
	v_mul_hi_u32 v35, v24, v27
	v_mul_lo_u32 v27, v24, v27
	v_add_co_u32 v29, vcc_lo, v29, v30
	v_add_co_ci_u32_e32 v30, vcc_lo, 0, v33, vcc_lo
	s_delay_alu instid0(VALU_DEP_2) | instskip(NEXT) | instid1(VALU_DEP_2)
	v_add_co_u32 v28, vcc_lo, v29, v28
	v_add_co_ci_u32_e32 v28, vcc_lo, v30, v34, vcc_lo
	v_add_co_ci_u32_e32 v29, vcc_lo, 0, v35, vcc_lo
	s_delay_alu instid0(VALU_DEP_2) | instskip(NEXT) | instid1(VALU_DEP_2)
	v_add_co_u32 v27, vcc_lo, v28, v27
	v_add_co_ci_u32_e32 v28, vcc_lo, 0, v29, vcc_lo
	s_delay_alu instid0(VALU_DEP_2) | instskip(NEXT) | instid1(VALU_DEP_2)
	v_add_co_u32 v23, vcc_lo, v23, v27
	v_add_co_ci_u32_e32 v24, vcc_lo, v24, v28, vcc_lo
	s_delay_alu instid0(VALU_DEP_2) | instskip(SKIP_1) | instid1(VALU_DEP_3)
	v_mul_hi_u32 v27, s0, v23
	v_mul_lo_u32 v29, s4, v23
	v_mul_lo_u32 v28, s0, v24
	s_delay_alu instid0(VALU_DEP_1) | instskip(SKIP_1) | instid1(VALU_DEP_2)
	v_add_nc_u32_e32 v27, v27, v28
	v_mul_lo_u32 v28, s0, v23
	v_add_nc_u32_e32 v27, v27, v29
	s_delay_alu instid0(VALU_DEP_2) | instskip(NEXT) | instid1(VALU_DEP_2)
	v_mul_hi_u32 v29, v23, v28
	v_mul_lo_u32 v30, v23, v27
	v_mul_hi_u32 v33, v23, v27
	v_mul_hi_u32 v34, v24, v28
	v_mul_lo_u32 v28, v24, v28
	v_mul_hi_u32 v35, v24, v27
	v_mul_lo_u32 v27, v24, v27
	v_add_co_u32 v29, vcc_lo, v29, v30
	v_add_co_ci_u32_e32 v30, vcc_lo, 0, v33, vcc_lo
	s_delay_alu instid0(VALU_DEP_2) | instskip(NEXT) | instid1(VALU_DEP_2)
	v_add_co_u32 v28, vcc_lo, v29, v28
	v_add_co_ci_u32_e32 v28, vcc_lo, v30, v34, vcc_lo
	v_add_co_ci_u32_e32 v29, vcc_lo, 0, v35, vcc_lo
	s_delay_alu instid0(VALU_DEP_2) | instskip(NEXT) | instid1(VALU_DEP_2)
	v_add_co_u32 v27, vcc_lo, v28, v27
	v_add_co_ci_u32_e32 v28, vcc_lo, 0, v29, vcc_lo
	s_delay_alu instid0(VALU_DEP_2) | instskip(NEXT) | instid1(VALU_DEP_2)
	v_add_co_u32 v29, vcc_lo, v23, v27
	v_add_co_ci_u32_e32 v33, vcc_lo, v24, v28, vcc_lo
	s_delay_alu instid0(VALU_DEP_2) | instskip(SKIP_1) | instid1(VALU_DEP_3)
	v_mul_hi_u32 v34, v25, v29
	v_mad_u64_u32 v[27:28], null, v26, v29, 0
	v_mad_u64_u32 v[23:24], null, v25, v33, 0
	;; [unrolled: 1-line block ×3, first 2 shown]
	s_delay_alu instid0(VALU_DEP_2) | instskip(NEXT) | instid1(VALU_DEP_3)
	v_add_co_u32 v23, vcc_lo, v34, v23
	v_add_co_ci_u32_e32 v24, vcc_lo, 0, v24, vcc_lo
	s_delay_alu instid0(VALU_DEP_2) | instskip(NEXT) | instid1(VALU_DEP_2)
	v_add_co_u32 v23, vcc_lo, v23, v27
	v_add_co_ci_u32_e32 v23, vcc_lo, v24, v28, vcc_lo
	v_add_co_ci_u32_e32 v24, vcc_lo, 0, v30, vcc_lo
	s_delay_alu instid0(VALU_DEP_2) | instskip(NEXT) | instid1(VALU_DEP_2)
	v_add_co_u32 v27, vcc_lo, v23, v29
	v_add_co_ci_u32_e32 v28, vcc_lo, 0, v24, vcc_lo
	s_delay_alu instid0(VALU_DEP_2) | instskip(SKIP_1) | instid1(VALU_DEP_3)
	v_mul_lo_u32 v29, s39, v27
	v_mad_u64_u32 v[23:24], null, s38, v27, 0
	v_mul_lo_u32 v30, s38, v28
	s_delay_alu instid0(VALU_DEP_2) | instskip(NEXT) | instid1(VALU_DEP_2)
	v_sub_co_u32 v23, vcc_lo, v25, v23
	v_add3_u32 v24, v24, v30, v29
	s_delay_alu instid0(VALU_DEP_1) | instskip(NEXT) | instid1(VALU_DEP_1)
	v_sub_nc_u32_e32 v29, v26, v24
	v_subrev_co_ci_u32_e64 v25, s0, s39, v29, vcc_lo
	v_add_co_u32 v29, s0, v27, 2
	s_delay_alu instid0(VALU_DEP_1) | instskip(SKIP_3) | instid1(VALU_DEP_3)
	v_add_co_ci_u32_e64 v30, s0, 0, v28, s0
	v_sub_co_u32 v33, s0, v23, s38
	v_sub_co_ci_u32_e32 v24, vcc_lo, v26, v24, vcc_lo
	v_subrev_co_ci_u32_e64 v25, s0, 0, v25, s0
	v_cmp_le_u32_e32 vcc_lo, s38, v33
	s_delay_alu instid0(VALU_DEP_3) | instskip(SKIP_1) | instid1(VALU_DEP_4)
	v_cmp_eq_u32_e64 s0, s39, v24
	v_cndmask_b32_e64 v26, 0, -1, vcc_lo
	v_cmp_le_u32_e32 vcc_lo, s39, v25
	v_cndmask_b32_e64 v33, 0, -1, vcc_lo
	v_cmp_le_u32_e32 vcc_lo, s38, v23
	v_cndmask_b32_e64 v23, 0, -1, vcc_lo
	v_cmp_le_u32_e32 vcc_lo, s39, v24
	v_cndmask_b32_e64 v34, 0, -1, vcc_lo
	v_cmp_eq_u32_e32 vcc_lo, s39, v25
	s_delay_alu instid0(VALU_DEP_2) | instskip(SKIP_3) | instid1(VALU_DEP_3)
	v_cndmask_b32_e64 v23, v34, v23, s0
	v_cndmask_b32_e32 v25, v33, v26, vcc_lo
	v_add_co_u32 v26, vcc_lo, v27, 1
	v_add_co_ci_u32_e32 v33, vcc_lo, 0, v28, vcc_lo
	v_cmp_ne_u32_e32 vcc_lo, 0, v25
	s_delay_alu instid0(VALU_DEP_2) | instskip(SKIP_1) | instid1(VALU_DEP_2)
	v_dual_cndmask_b32 v24, v33, v30 :: v_dual_cndmask_b32 v25, v26, v29
	v_cmp_ne_u32_e32 vcc_lo, 0, v23
	v_dual_cndmask_b32 v24, v28, v24 :: v_dual_cndmask_b32 v23, v27, v25
                                        ; implicit-def: $vgpr25
.LBB21_209:
	s_and_not1_saveexec_b32 s0, s1
	s_cbranch_execz .LBB21_211
; %bb.210:
	v_cvt_f32_u32_e32 v23, s38
	s_sub_i32 s1, 0, s38
	s_delay_alu instid0(VALU_DEP_1) | instskip(SKIP_2) | instid1(VALU_DEP_1)
	v_rcp_iflag_f32_e32 v23, v23
	s_waitcnt_depctr 0xfff
	v_mul_f32_e32 v23, 0x4f7ffffe, v23
	v_cvt_u32_f32_e32 v23, v23
	s_delay_alu instid0(VALU_DEP_1) | instskip(NEXT) | instid1(VALU_DEP_1)
	v_mul_lo_u32 v24, s1, v23
	v_mul_hi_u32 v24, v23, v24
	s_delay_alu instid0(VALU_DEP_1) | instskip(NEXT) | instid1(VALU_DEP_1)
	v_add_nc_u32_e32 v23, v23, v24
	v_mul_hi_u32 v23, v25, v23
	s_delay_alu instid0(VALU_DEP_1) | instskip(NEXT) | instid1(VALU_DEP_1)
	v_mul_lo_u32 v24, v23, s38
	v_sub_nc_u32_e32 v24, v25, v24
	v_add_nc_u32_e32 v25, 1, v23
	s_delay_alu instid0(VALU_DEP_2) | instskip(SKIP_1) | instid1(VALU_DEP_2)
	v_subrev_nc_u32_e32 v26, s38, v24
	v_cmp_le_u32_e32 vcc_lo, s38, v24
	v_dual_cndmask_b32 v24, v24, v26 :: v_dual_cndmask_b32 v23, v23, v25
	s_delay_alu instid0(VALU_DEP_1) | instskip(NEXT) | instid1(VALU_DEP_2)
	v_cmp_le_u32_e32 vcc_lo, s38, v24
	v_dual_mov_b32 v24, 0 :: v_dual_add_nc_u32 v25, 1, v23
	s_delay_alu instid0(VALU_DEP_1)
	v_cndmask_b32_e32 v23, v23, v25, vcc_lo
.LBB21_211:
	s_or_b32 exec_lo, exec_lo, s0
	v_add_co_u32 v27, vcc_lo, 0xc00, v31
	v_add_co_ci_u32_e32 v28, vcc_lo, 0, v32, vcc_lo
	v_mov_b32_e32 v25, 0
	s_delay_alu instid0(VALU_DEP_2) | instskip(NEXT) | instid1(VALU_DEP_1)
	v_or_b32_e32 v26, s39, v28
	v_cmp_ne_u64_e32 vcc_lo, 0, v[25:26]
                                        ; implicit-def: $vgpr25_vgpr26
	s_and_saveexec_b32 s0, vcc_lo
	s_delay_alu instid0(SALU_CYCLE_1)
	s_xor_b32 s1, exec_lo, s0
	s_cbranch_execz .LBB21_213
; %bb.212:
	v_cvt_f32_u32_e32 v25, s38
	v_cvt_f32_u32_e32 v26, s39
	s_sub_u32 s0, 0, s38
	s_subb_u32 s4, 0, s39
	s_delay_alu instid0(VALU_DEP_1) | instskip(NEXT) | instid1(VALU_DEP_1)
	v_fmamk_f32 v25, v26, 0x4f800000, v25
	v_rcp_f32_e32 v25, v25
	s_waitcnt_depctr 0xfff
	v_mul_f32_e32 v25, 0x5f7ffffc, v25
	s_delay_alu instid0(VALU_DEP_1) | instskip(NEXT) | instid1(VALU_DEP_1)
	v_mul_f32_e32 v26, 0x2f800000, v25
	v_trunc_f32_e32 v26, v26
	s_delay_alu instid0(VALU_DEP_1) | instskip(SKIP_1) | instid1(VALU_DEP_2)
	v_fmamk_f32 v25, v26, 0xcf800000, v25
	v_cvt_u32_f32_e32 v26, v26
	v_cvt_u32_f32_e32 v25, v25
	s_delay_alu instid0(VALU_DEP_2) | instskip(NEXT) | instid1(VALU_DEP_2)
	v_mul_lo_u32 v29, s0, v26
	v_mul_hi_u32 v30, s0, v25
	v_mul_lo_u32 v33, s4, v25
	s_delay_alu instid0(VALU_DEP_2) | instskip(SKIP_1) | instid1(VALU_DEP_2)
	v_add_nc_u32_e32 v29, v30, v29
	v_mul_lo_u32 v30, s0, v25
	v_add_nc_u32_e32 v29, v29, v33
	s_delay_alu instid0(VALU_DEP_2) | instskip(NEXT) | instid1(VALU_DEP_2)
	v_mul_hi_u32 v33, v25, v30
	v_mul_lo_u32 v34, v25, v29
	s_waitcnt lgkmcnt(0)
	v_mul_hi_u32 v35, v25, v29
	v_mul_hi_u32 v36, v26, v30
	v_mul_lo_u32 v30, v26, v30
	v_mul_hi_u32 v37, v26, v29
	v_mul_lo_u32 v29, v26, v29
	v_add_co_u32 v33, vcc_lo, v33, v34
	v_add_co_ci_u32_e32 v34, vcc_lo, 0, v35, vcc_lo
	s_delay_alu instid0(VALU_DEP_2) | instskip(NEXT) | instid1(VALU_DEP_2)
	v_add_co_u32 v30, vcc_lo, v33, v30
	v_add_co_ci_u32_e32 v30, vcc_lo, v34, v36, vcc_lo
	v_add_co_ci_u32_e32 v33, vcc_lo, 0, v37, vcc_lo
	s_delay_alu instid0(VALU_DEP_2) | instskip(NEXT) | instid1(VALU_DEP_2)
	v_add_co_u32 v29, vcc_lo, v30, v29
	v_add_co_ci_u32_e32 v30, vcc_lo, 0, v33, vcc_lo
	s_delay_alu instid0(VALU_DEP_2) | instskip(NEXT) | instid1(VALU_DEP_2)
	v_add_co_u32 v25, vcc_lo, v25, v29
	v_add_co_ci_u32_e32 v26, vcc_lo, v26, v30, vcc_lo
	s_delay_alu instid0(VALU_DEP_2) | instskip(SKIP_1) | instid1(VALU_DEP_3)
	v_mul_hi_u32 v29, s0, v25
	v_mul_lo_u32 v33, s4, v25
	v_mul_lo_u32 v30, s0, v26
	s_delay_alu instid0(VALU_DEP_1) | instskip(SKIP_1) | instid1(VALU_DEP_2)
	v_add_nc_u32_e32 v29, v29, v30
	v_mul_lo_u32 v30, s0, v25
	v_add_nc_u32_e32 v29, v29, v33
	s_delay_alu instid0(VALU_DEP_2) | instskip(NEXT) | instid1(VALU_DEP_2)
	v_mul_hi_u32 v33, v25, v30
	v_mul_lo_u32 v34, v25, v29
	v_mul_hi_u32 v35, v25, v29
	v_mul_hi_u32 v36, v26, v30
	v_mul_lo_u32 v30, v26, v30
	v_mul_hi_u32 v37, v26, v29
	v_mul_lo_u32 v29, v26, v29
	v_add_co_u32 v33, vcc_lo, v33, v34
	v_add_co_ci_u32_e32 v34, vcc_lo, 0, v35, vcc_lo
	s_delay_alu instid0(VALU_DEP_2) | instskip(NEXT) | instid1(VALU_DEP_2)
	v_add_co_u32 v30, vcc_lo, v33, v30
	v_add_co_ci_u32_e32 v30, vcc_lo, v34, v36, vcc_lo
	v_add_co_ci_u32_e32 v33, vcc_lo, 0, v37, vcc_lo
	s_delay_alu instid0(VALU_DEP_2) | instskip(NEXT) | instid1(VALU_DEP_2)
	v_add_co_u32 v29, vcc_lo, v30, v29
	v_add_co_ci_u32_e32 v30, vcc_lo, 0, v33, vcc_lo
	s_delay_alu instid0(VALU_DEP_2) | instskip(NEXT) | instid1(VALU_DEP_2)
	v_add_co_u32 v33, vcc_lo, v25, v29
	v_add_co_ci_u32_e32 v35, vcc_lo, v26, v30, vcc_lo
	s_delay_alu instid0(VALU_DEP_2) | instskip(SKIP_1) | instid1(VALU_DEP_3)
	v_mul_hi_u32 v36, v27, v33
	v_mad_u64_u32 v[29:30], null, v28, v33, 0
	v_mad_u64_u32 v[25:26], null, v27, v35, 0
	;; [unrolled: 1-line block ×3, first 2 shown]
	s_delay_alu instid0(VALU_DEP_2) | instskip(NEXT) | instid1(VALU_DEP_3)
	v_add_co_u32 v25, vcc_lo, v36, v25
	v_add_co_ci_u32_e32 v26, vcc_lo, 0, v26, vcc_lo
	s_delay_alu instid0(VALU_DEP_2) | instskip(NEXT) | instid1(VALU_DEP_2)
	v_add_co_u32 v25, vcc_lo, v25, v29
	v_add_co_ci_u32_e32 v25, vcc_lo, v26, v30, vcc_lo
	v_add_co_ci_u32_e32 v26, vcc_lo, 0, v34, vcc_lo
	s_delay_alu instid0(VALU_DEP_2) | instskip(NEXT) | instid1(VALU_DEP_2)
	v_add_co_u32 v29, vcc_lo, v25, v33
	v_add_co_ci_u32_e32 v30, vcc_lo, 0, v26, vcc_lo
	s_delay_alu instid0(VALU_DEP_2) | instskip(SKIP_1) | instid1(VALU_DEP_3)
	v_mul_lo_u32 v33, s39, v29
	v_mad_u64_u32 v[25:26], null, s38, v29, 0
	v_mul_lo_u32 v34, s38, v30
	s_delay_alu instid0(VALU_DEP_2) | instskip(NEXT) | instid1(VALU_DEP_2)
	v_sub_co_u32 v25, vcc_lo, v27, v25
	v_add3_u32 v26, v26, v34, v33
	s_delay_alu instid0(VALU_DEP_1) | instskip(NEXT) | instid1(VALU_DEP_1)
	v_sub_nc_u32_e32 v33, v28, v26
	v_subrev_co_ci_u32_e64 v27, s0, s39, v33, vcc_lo
	v_add_co_u32 v33, s0, v29, 2
	s_delay_alu instid0(VALU_DEP_1) | instskip(SKIP_3) | instid1(VALU_DEP_3)
	v_add_co_ci_u32_e64 v34, s0, 0, v30, s0
	v_sub_co_u32 v35, s0, v25, s38
	v_sub_co_ci_u32_e32 v26, vcc_lo, v28, v26, vcc_lo
	v_subrev_co_ci_u32_e64 v27, s0, 0, v27, s0
	v_cmp_le_u32_e32 vcc_lo, s38, v35
	s_delay_alu instid0(VALU_DEP_3) | instskip(SKIP_1) | instid1(VALU_DEP_4)
	v_cmp_eq_u32_e64 s0, s39, v26
	v_cndmask_b32_e64 v28, 0, -1, vcc_lo
	v_cmp_le_u32_e32 vcc_lo, s39, v27
	v_cndmask_b32_e64 v35, 0, -1, vcc_lo
	v_cmp_le_u32_e32 vcc_lo, s38, v25
	;; [unrolled: 2-line block ×3, first 2 shown]
	v_cndmask_b32_e64 v36, 0, -1, vcc_lo
	v_cmp_eq_u32_e32 vcc_lo, s39, v27
	s_delay_alu instid0(VALU_DEP_2) | instskip(SKIP_3) | instid1(VALU_DEP_3)
	v_cndmask_b32_e64 v25, v36, v25, s0
	v_cndmask_b32_e32 v27, v35, v28, vcc_lo
	v_add_co_u32 v28, vcc_lo, v29, 1
	v_add_co_ci_u32_e32 v35, vcc_lo, 0, v30, vcc_lo
	v_cmp_ne_u32_e32 vcc_lo, 0, v27
	s_delay_alu instid0(VALU_DEP_2) | instskip(SKIP_1) | instid1(VALU_DEP_2)
	v_dual_cndmask_b32 v26, v35, v34 :: v_dual_cndmask_b32 v27, v28, v33
	v_cmp_ne_u32_e32 vcc_lo, 0, v25
	v_dual_cndmask_b32 v26, v30, v26 :: v_dual_cndmask_b32 v25, v29, v27
                                        ; implicit-def: $vgpr27
.LBB21_213:
	s_and_not1_saveexec_b32 s0, s1
	s_cbranch_execz .LBB21_215
; %bb.214:
	v_cvt_f32_u32_e32 v25, s38
	s_sub_i32 s1, 0, s38
	s_delay_alu instid0(VALU_DEP_1) | instskip(SKIP_2) | instid1(VALU_DEP_1)
	v_rcp_iflag_f32_e32 v25, v25
	s_waitcnt_depctr 0xfff
	v_mul_f32_e32 v25, 0x4f7ffffe, v25
	v_cvt_u32_f32_e32 v25, v25
	s_delay_alu instid0(VALU_DEP_1) | instskip(NEXT) | instid1(VALU_DEP_1)
	v_mul_lo_u32 v26, s1, v25
	v_mul_hi_u32 v26, v25, v26
	s_delay_alu instid0(VALU_DEP_1) | instskip(NEXT) | instid1(VALU_DEP_1)
	v_add_nc_u32_e32 v25, v25, v26
	v_mul_hi_u32 v25, v27, v25
	s_delay_alu instid0(VALU_DEP_1) | instskip(NEXT) | instid1(VALU_DEP_1)
	v_mul_lo_u32 v26, v25, s38
	v_sub_nc_u32_e32 v26, v27, v26
	v_add_nc_u32_e32 v27, 1, v25
	s_delay_alu instid0(VALU_DEP_2) | instskip(SKIP_1) | instid1(VALU_DEP_2)
	v_subrev_nc_u32_e32 v28, s38, v26
	v_cmp_le_u32_e32 vcc_lo, s38, v26
	v_dual_cndmask_b32 v26, v26, v28 :: v_dual_cndmask_b32 v25, v25, v27
	s_delay_alu instid0(VALU_DEP_1) | instskip(NEXT) | instid1(VALU_DEP_2)
	v_cmp_le_u32_e32 vcc_lo, s38, v26
	v_dual_mov_b32 v26, 0 :: v_dual_add_nc_u32 v27, 1, v25
	s_delay_alu instid0(VALU_DEP_1)
	v_cndmask_b32_e32 v25, v25, v27, vcc_lo
.LBB21_215:
	s_or_b32 exec_lo, exec_lo, s0
	v_add_co_u32 v29, vcc_lo, 0xd00, v31
	v_add_co_ci_u32_e32 v30, vcc_lo, 0, v32, vcc_lo
	v_mov_b32_e32 v27, 0
	s_delay_alu instid0(VALU_DEP_2) | instskip(NEXT) | instid1(VALU_DEP_1)
	v_or_b32_e32 v28, s39, v30
	v_cmp_ne_u64_e32 vcc_lo, 0, v[27:28]
                                        ; implicit-def: $vgpr27_vgpr28
	s_and_saveexec_b32 s0, vcc_lo
	s_delay_alu instid0(SALU_CYCLE_1)
	s_xor_b32 s1, exec_lo, s0
	s_cbranch_execz .LBB21_217
; %bb.216:
	v_cvt_f32_u32_e32 v27, s38
	v_cvt_f32_u32_e32 v28, s39
	s_sub_u32 s0, 0, s38
	s_subb_u32 s4, 0, s39
	s_delay_alu instid0(VALU_DEP_1) | instskip(NEXT) | instid1(VALU_DEP_1)
	v_fmamk_f32 v27, v28, 0x4f800000, v27
	v_rcp_f32_e32 v27, v27
	s_waitcnt_depctr 0xfff
	v_mul_f32_e32 v27, 0x5f7ffffc, v27
	s_delay_alu instid0(VALU_DEP_1) | instskip(NEXT) | instid1(VALU_DEP_1)
	v_mul_f32_e32 v28, 0x2f800000, v27
	v_trunc_f32_e32 v28, v28
	s_delay_alu instid0(VALU_DEP_1) | instskip(SKIP_1) | instid1(VALU_DEP_2)
	v_fmamk_f32 v27, v28, 0xcf800000, v27
	v_cvt_u32_f32_e32 v28, v28
	v_cvt_u32_f32_e32 v27, v27
	s_delay_alu instid0(VALU_DEP_2) | instskip(NEXT) | instid1(VALU_DEP_2)
	v_mul_lo_u32 v33, s0, v28
	v_mul_hi_u32 v34, s0, v27
	s_waitcnt lgkmcnt(0)
	v_mul_lo_u32 v35, s4, v27
	s_delay_alu instid0(VALU_DEP_2) | instskip(SKIP_1) | instid1(VALU_DEP_2)
	v_add_nc_u32_e32 v33, v34, v33
	v_mul_lo_u32 v34, s0, v27
	v_add_nc_u32_e32 v33, v33, v35
	s_delay_alu instid0(VALU_DEP_2) | instskip(NEXT) | instid1(VALU_DEP_2)
	v_mul_hi_u32 v35, v27, v34
	v_mul_lo_u32 v36, v27, v33
	v_mul_hi_u32 v37, v27, v33
	v_mul_hi_u32 v38, v28, v34
	v_mul_lo_u32 v34, v28, v34
	v_mul_hi_u32 v39, v28, v33
	v_mul_lo_u32 v33, v28, v33
	v_add_co_u32 v35, vcc_lo, v35, v36
	v_add_co_ci_u32_e32 v36, vcc_lo, 0, v37, vcc_lo
	s_delay_alu instid0(VALU_DEP_2) | instskip(NEXT) | instid1(VALU_DEP_2)
	v_add_co_u32 v34, vcc_lo, v35, v34
	v_add_co_ci_u32_e32 v34, vcc_lo, v36, v38, vcc_lo
	v_add_co_ci_u32_e32 v35, vcc_lo, 0, v39, vcc_lo
	s_delay_alu instid0(VALU_DEP_2) | instskip(NEXT) | instid1(VALU_DEP_2)
	v_add_co_u32 v33, vcc_lo, v34, v33
	v_add_co_ci_u32_e32 v34, vcc_lo, 0, v35, vcc_lo
	s_delay_alu instid0(VALU_DEP_2) | instskip(NEXT) | instid1(VALU_DEP_2)
	v_add_co_u32 v27, vcc_lo, v27, v33
	v_add_co_ci_u32_e32 v28, vcc_lo, v28, v34, vcc_lo
	s_delay_alu instid0(VALU_DEP_2) | instskip(SKIP_1) | instid1(VALU_DEP_3)
	v_mul_hi_u32 v33, s0, v27
	v_mul_lo_u32 v35, s4, v27
	v_mul_lo_u32 v34, s0, v28
	s_delay_alu instid0(VALU_DEP_1) | instskip(SKIP_1) | instid1(VALU_DEP_2)
	v_add_nc_u32_e32 v33, v33, v34
	v_mul_lo_u32 v34, s0, v27
	v_add_nc_u32_e32 v33, v33, v35
	s_delay_alu instid0(VALU_DEP_2) | instskip(NEXT) | instid1(VALU_DEP_2)
	v_mul_hi_u32 v35, v27, v34
	v_mul_lo_u32 v36, v27, v33
	v_mul_hi_u32 v37, v27, v33
	v_mul_hi_u32 v38, v28, v34
	v_mul_lo_u32 v34, v28, v34
	v_mul_hi_u32 v39, v28, v33
	v_mul_lo_u32 v33, v28, v33
	v_add_co_u32 v35, vcc_lo, v35, v36
	v_add_co_ci_u32_e32 v36, vcc_lo, 0, v37, vcc_lo
	s_delay_alu instid0(VALU_DEP_2) | instskip(NEXT) | instid1(VALU_DEP_2)
	v_add_co_u32 v34, vcc_lo, v35, v34
	v_add_co_ci_u32_e32 v34, vcc_lo, v36, v38, vcc_lo
	v_add_co_ci_u32_e32 v35, vcc_lo, 0, v39, vcc_lo
	s_delay_alu instid0(VALU_DEP_2) | instskip(NEXT) | instid1(VALU_DEP_2)
	v_add_co_u32 v33, vcc_lo, v34, v33
	v_add_co_ci_u32_e32 v34, vcc_lo, 0, v35, vcc_lo
	s_delay_alu instid0(VALU_DEP_2) | instskip(NEXT) | instid1(VALU_DEP_2)
	v_add_co_u32 v35, vcc_lo, v27, v33
	v_add_co_ci_u32_e32 v37, vcc_lo, v28, v34, vcc_lo
	s_delay_alu instid0(VALU_DEP_2) | instskip(SKIP_1) | instid1(VALU_DEP_3)
	v_mul_hi_u32 v38, v29, v35
	v_mad_u64_u32 v[33:34], null, v30, v35, 0
	v_mad_u64_u32 v[27:28], null, v29, v37, 0
	;; [unrolled: 1-line block ×3, first 2 shown]
	s_delay_alu instid0(VALU_DEP_2) | instskip(NEXT) | instid1(VALU_DEP_3)
	v_add_co_u32 v27, vcc_lo, v38, v27
	v_add_co_ci_u32_e32 v28, vcc_lo, 0, v28, vcc_lo
	s_delay_alu instid0(VALU_DEP_2) | instskip(NEXT) | instid1(VALU_DEP_2)
	v_add_co_u32 v27, vcc_lo, v27, v33
	v_add_co_ci_u32_e32 v27, vcc_lo, v28, v34, vcc_lo
	v_add_co_ci_u32_e32 v28, vcc_lo, 0, v36, vcc_lo
	s_delay_alu instid0(VALU_DEP_2) | instskip(NEXT) | instid1(VALU_DEP_2)
	v_add_co_u32 v33, vcc_lo, v27, v35
	v_add_co_ci_u32_e32 v34, vcc_lo, 0, v28, vcc_lo
	s_delay_alu instid0(VALU_DEP_2) | instskip(SKIP_1) | instid1(VALU_DEP_3)
	v_mul_lo_u32 v35, s39, v33
	v_mad_u64_u32 v[27:28], null, s38, v33, 0
	v_mul_lo_u32 v36, s38, v34
	s_delay_alu instid0(VALU_DEP_2) | instskip(NEXT) | instid1(VALU_DEP_2)
	v_sub_co_u32 v27, vcc_lo, v29, v27
	v_add3_u32 v28, v28, v36, v35
	s_delay_alu instid0(VALU_DEP_1) | instskip(NEXT) | instid1(VALU_DEP_1)
	v_sub_nc_u32_e32 v35, v30, v28
	v_subrev_co_ci_u32_e64 v29, s0, s39, v35, vcc_lo
	v_add_co_u32 v35, s0, v33, 2
	s_delay_alu instid0(VALU_DEP_1) | instskip(SKIP_3) | instid1(VALU_DEP_3)
	v_add_co_ci_u32_e64 v36, s0, 0, v34, s0
	v_sub_co_u32 v37, s0, v27, s38
	v_sub_co_ci_u32_e32 v28, vcc_lo, v30, v28, vcc_lo
	v_subrev_co_ci_u32_e64 v29, s0, 0, v29, s0
	v_cmp_le_u32_e32 vcc_lo, s38, v37
	s_delay_alu instid0(VALU_DEP_3) | instskip(SKIP_1) | instid1(VALU_DEP_4)
	v_cmp_eq_u32_e64 s0, s39, v28
	v_cndmask_b32_e64 v30, 0, -1, vcc_lo
	v_cmp_le_u32_e32 vcc_lo, s39, v29
	v_cndmask_b32_e64 v37, 0, -1, vcc_lo
	v_cmp_le_u32_e32 vcc_lo, s38, v27
	;; [unrolled: 2-line block ×3, first 2 shown]
	v_cndmask_b32_e64 v38, 0, -1, vcc_lo
	v_cmp_eq_u32_e32 vcc_lo, s39, v29
	s_delay_alu instid0(VALU_DEP_2) | instskip(SKIP_3) | instid1(VALU_DEP_3)
	v_cndmask_b32_e64 v27, v38, v27, s0
	v_cndmask_b32_e32 v29, v37, v30, vcc_lo
	v_add_co_u32 v30, vcc_lo, v33, 1
	v_add_co_ci_u32_e32 v37, vcc_lo, 0, v34, vcc_lo
	v_cmp_ne_u32_e32 vcc_lo, 0, v29
	s_delay_alu instid0(VALU_DEP_2) | instskip(SKIP_1) | instid1(VALU_DEP_2)
	v_dual_cndmask_b32 v28, v37, v36 :: v_dual_cndmask_b32 v29, v30, v35
	v_cmp_ne_u32_e32 vcc_lo, 0, v27
	v_dual_cndmask_b32 v28, v34, v28 :: v_dual_cndmask_b32 v27, v33, v29
                                        ; implicit-def: $vgpr29
.LBB21_217:
	s_and_not1_saveexec_b32 s0, s1
	s_cbranch_execz .LBB21_219
; %bb.218:
	v_cvt_f32_u32_e32 v27, s38
	s_sub_i32 s1, 0, s38
	s_delay_alu instid0(VALU_DEP_1) | instskip(SKIP_2) | instid1(VALU_DEP_1)
	v_rcp_iflag_f32_e32 v27, v27
	s_waitcnt_depctr 0xfff
	v_mul_f32_e32 v27, 0x4f7ffffe, v27
	v_cvt_u32_f32_e32 v27, v27
	s_delay_alu instid0(VALU_DEP_1) | instskip(NEXT) | instid1(VALU_DEP_1)
	v_mul_lo_u32 v28, s1, v27
	v_mul_hi_u32 v28, v27, v28
	s_delay_alu instid0(VALU_DEP_1) | instskip(NEXT) | instid1(VALU_DEP_1)
	v_add_nc_u32_e32 v27, v27, v28
	v_mul_hi_u32 v27, v29, v27
	s_delay_alu instid0(VALU_DEP_1) | instskip(NEXT) | instid1(VALU_DEP_1)
	v_mul_lo_u32 v28, v27, s38
	v_sub_nc_u32_e32 v28, v29, v28
	v_add_nc_u32_e32 v29, 1, v27
	s_delay_alu instid0(VALU_DEP_2) | instskip(SKIP_1) | instid1(VALU_DEP_2)
	v_subrev_nc_u32_e32 v30, s38, v28
	v_cmp_le_u32_e32 vcc_lo, s38, v28
	v_dual_cndmask_b32 v28, v28, v30 :: v_dual_cndmask_b32 v27, v27, v29
	s_delay_alu instid0(VALU_DEP_1) | instskip(NEXT) | instid1(VALU_DEP_2)
	v_cmp_le_u32_e32 vcc_lo, s38, v28
	v_dual_mov_b32 v28, 0 :: v_dual_add_nc_u32 v29, 1, v27
	s_delay_alu instid0(VALU_DEP_1)
	v_cndmask_b32_e32 v27, v27, v29, vcc_lo
.LBB21_219:
	s_or_b32 exec_lo, exec_lo, s0
	v_add_co_u32 v33, vcc_lo, 0xe00, v31
	v_add_co_ci_u32_e32 v34, vcc_lo, 0, v32, vcc_lo
	v_mov_b32_e32 v29, 0
	s_delay_alu instid0(VALU_DEP_2) | instskip(NEXT) | instid1(VALU_DEP_1)
	v_or_b32_e32 v30, s39, v34
	v_cmp_ne_u64_e32 vcc_lo, 0, v[29:30]
                                        ; implicit-def: $vgpr29_vgpr30
	s_and_saveexec_b32 s0, vcc_lo
	s_delay_alu instid0(SALU_CYCLE_1)
	s_xor_b32 s1, exec_lo, s0
	s_cbranch_execz .LBB21_221
; %bb.220:
	v_cvt_f32_u32_e32 v29, s38
	v_cvt_f32_u32_e32 v30, s39
	s_sub_u32 s0, 0, s38
	s_subb_u32 s4, 0, s39
	s_delay_alu instid0(VALU_DEP_1) | instskip(NEXT) | instid1(VALU_DEP_1)
	v_fmamk_f32 v29, v30, 0x4f800000, v29
	v_rcp_f32_e32 v29, v29
	s_waitcnt_depctr 0xfff
	v_mul_f32_e32 v29, 0x5f7ffffc, v29
	s_delay_alu instid0(VALU_DEP_1) | instskip(NEXT) | instid1(VALU_DEP_1)
	v_mul_f32_e32 v30, 0x2f800000, v29
	v_trunc_f32_e32 v30, v30
	s_delay_alu instid0(VALU_DEP_1) | instskip(SKIP_1) | instid1(VALU_DEP_2)
	v_fmamk_f32 v29, v30, 0xcf800000, v29
	v_cvt_u32_f32_e32 v30, v30
	v_cvt_u32_f32_e32 v29, v29
	s_waitcnt lgkmcnt(0)
	s_delay_alu instid0(VALU_DEP_2) | instskip(NEXT) | instid1(VALU_DEP_2)
	v_mul_lo_u32 v35, s0, v30
	v_mul_hi_u32 v36, s0, v29
	v_mul_lo_u32 v37, s4, v29
	s_delay_alu instid0(VALU_DEP_2) | instskip(SKIP_1) | instid1(VALU_DEP_2)
	v_add_nc_u32_e32 v35, v36, v35
	v_mul_lo_u32 v36, s0, v29
	v_add_nc_u32_e32 v35, v35, v37
	s_delay_alu instid0(VALU_DEP_2) | instskip(NEXT) | instid1(VALU_DEP_2)
	v_mul_hi_u32 v37, v29, v36
	v_mul_lo_u32 v38, v29, v35
	v_mul_hi_u32 v39, v29, v35
	v_mul_hi_u32 v40, v30, v36
	v_mul_lo_u32 v36, v30, v36
	v_mul_hi_u32 v41, v30, v35
	v_mul_lo_u32 v35, v30, v35
	v_add_co_u32 v37, vcc_lo, v37, v38
	v_add_co_ci_u32_e32 v38, vcc_lo, 0, v39, vcc_lo
	s_delay_alu instid0(VALU_DEP_2) | instskip(NEXT) | instid1(VALU_DEP_2)
	v_add_co_u32 v36, vcc_lo, v37, v36
	v_add_co_ci_u32_e32 v36, vcc_lo, v38, v40, vcc_lo
	v_add_co_ci_u32_e32 v37, vcc_lo, 0, v41, vcc_lo
	s_delay_alu instid0(VALU_DEP_2) | instskip(NEXT) | instid1(VALU_DEP_2)
	v_add_co_u32 v35, vcc_lo, v36, v35
	v_add_co_ci_u32_e32 v36, vcc_lo, 0, v37, vcc_lo
	s_delay_alu instid0(VALU_DEP_2) | instskip(NEXT) | instid1(VALU_DEP_2)
	v_add_co_u32 v29, vcc_lo, v29, v35
	v_add_co_ci_u32_e32 v30, vcc_lo, v30, v36, vcc_lo
	s_delay_alu instid0(VALU_DEP_2) | instskip(SKIP_1) | instid1(VALU_DEP_3)
	v_mul_hi_u32 v35, s0, v29
	v_mul_lo_u32 v37, s4, v29
	v_mul_lo_u32 v36, s0, v30
	s_delay_alu instid0(VALU_DEP_1) | instskip(SKIP_1) | instid1(VALU_DEP_2)
	v_add_nc_u32_e32 v35, v35, v36
	v_mul_lo_u32 v36, s0, v29
	v_add_nc_u32_e32 v35, v35, v37
	s_delay_alu instid0(VALU_DEP_2) | instskip(NEXT) | instid1(VALU_DEP_2)
	v_mul_hi_u32 v37, v29, v36
	v_mul_lo_u32 v38, v29, v35
	v_mul_hi_u32 v39, v29, v35
	v_mul_hi_u32 v40, v30, v36
	v_mul_lo_u32 v36, v30, v36
	v_mul_hi_u32 v41, v30, v35
	v_mul_lo_u32 v35, v30, v35
	v_add_co_u32 v37, vcc_lo, v37, v38
	v_add_co_ci_u32_e32 v38, vcc_lo, 0, v39, vcc_lo
	s_delay_alu instid0(VALU_DEP_2) | instskip(NEXT) | instid1(VALU_DEP_2)
	v_add_co_u32 v36, vcc_lo, v37, v36
	v_add_co_ci_u32_e32 v36, vcc_lo, v38, v40, vcc_lo
	v_add_co_ci_u32_e32 v37, vcc_lo, 0, v41, vcc_lo
	s_delay_alu instid0(VALU_DEP_2) | instskip(NEXT) | instid1(VALU_DEP_2)
	v_add_co_u32 v35, vcc_lo, v36, v35
	v_add_co_ci_u32_e32 v36, vcc_lo, 0, v37, vcc_lo
	s_delay_alu instid0(VALU_DEP_2) | instskip(NEXT) | instid1(VALU_DEP_2)
	v_add_co_u32 v37, vcc_lo, v29, v35
	v_add_co_ci_u32_e32 v39, vcc_lo, v30, v36, vcc_lo
	s_delay_alu instid0(VALU_DEP_2) | instskip(SKIP_1) | instid1(VALU_DEP_3)
	v_mul_hi_u32 v40, v33, v37
	v_mad_u64_u32 v[35:36], null, v34, v37, 0
	v_mad_u64_u32 v[29:30], null, v33, v39, 0
	v_mad_u64_u32 v[37:38], null, v34, v39, 0
	s_delay_alu instid0(VALU_DEP_2) | instskip(NEXT) | instid1(VALU_DEP_3)
	v_add_co_u32 v29, vcc_lo, v40, v29
	v_add_co_ci_u32_e32 v30, vcc_lo, 0, v30, vcc_lo
	s_delay_alu instid0(VALU_DEP_2) | instskip(NEXT) | instid1(VALU_DEP_2)
	v_add_co_u32 v29, vcc_lo, v29, v35
	v_add_co_ci_u32_e32 v29, vcc_lo, v30, v36, vcc_lo
	v_add_co_ci_u32_e32 v30, vcc_lo, 0, v38, vcc_lo
	s_delay_alu instid0(VALU_DEP_2) | instskip(NEXT) | instid1(VALU_DEP_2)
	v_add_co_u32 v35, vcc_lo, v29, v37
	v_add_co_ci_u32_e32 v36, vcc_lo, 0, v30, vcc_lo
	s_delay_alu instid0(VALU_DEP_2) | instskip(SKIP_1) | instid1(VALU_DEP_3)
	v_mul_lo_u32 v37, s39, v35
	v_mad_u64_u32 v[29:30], null, s38, v35, 0
	v_mul_lo_u32 v38, s38, v36
	s_delay_alu instid0(VALU_DEP_2) | instskip(NEXT) | instid1(VALU_DEP_2)
	v_sub_co_u32 v29, vcc_lo, v33, v29
	v_add3_u32 v30, v30, v38, v37
	s_delay_alu instid0(VALU_DEP_1) | instskip(NEXT) | instid1(VALU_DEP_1)
	v_sub_nc_u32_e32 v37, v34, v30
	v_subrev_co_ci_u32_e64 v33, s0, s39, v37, vcc_lo
	v_add_co_u32 v37, s0, v35, 2
	s_delay_alu instid0(VALU_DEP_1) | instskip(SKIP_3) | instid1(VALU_DEP_3)
	v_add_co_ci_u32_e64 v38, s0, 0, v36, s0
	v_sub_co_u32 v39, s0, v29, s38
	v_sub_co_ci_u32_e32 v30, vcc_lo, v34, v30, vcc_lo
	v_subrev_co_ci_u32_e64 v33, s0, 0, v33, s0
	v_cmp_le_u32_e32 vcc_lo, s38, v39
	s_delay_alu instid0(VALU_DEP_3) | instskip(SKIP_1) | instid1(VALU_DEP_4)
	v_cmp_eq_u32_e64 s0, s39, v30
	v_cndmask_b32_e64 v34, 0, -1, vcc_lo
	v_cmp_le_u32_e32 vcc_lo, s39, v33
	v_cndmask_b32_e64 v39, 0, -1, vcc_lo
	v_cmp_le_u32_e32 vcc_lo, s38, v29
	v_cndmask_b32_e64 v29, 0, -1, vcc_lo
	v_cmp_le_u32_e32 vcc_lo, s39, v30
	v_cndmask_b32_e64 v40, 0, -1, vcc_lo
	v_cmp_eq_u32_e32 vcc_lo, s39, v33
	s_delay_alu instid0(VALU_DEP_2) | instskip(SKIP_3) | instid1(VALU_DEP_3)
	v_cndmask_b32_e64 v29, v40, v29, s0
	v_cndmask_b32_e32 v33, v39, v34, vcc_lo
	v_add_co_u32 v34, vcc_lo, v35, 1
	v_add_co_ci_u32_e32 v39, vcc_lo, 0, v36, vcc_lo
	v_cmp_ne_u32_e32 vcc_lo, 0, v33
	s_delay_alu instid0(VALU_DEP_2) | instskip(SKIP_1) | instid1(VALU_DEP_2)
	v_dual_cndmask_b32 v30, v39, v38 :: v_dual_cndmask_b32 v33, v34, v37
	v_cmp_ne_u32_e32 vcc_lo, 0, v29
	v_dual_cndmask_b32 v30, v36, v30 :: v_dual_cndmask_b32 v29, v35, v33
                                        ; implicit-def: $vgpr33
.LBB21_221:
	s_and_not1_saveexec_b32 s0, s1
	s_cbranch_execz .LBB21_223
; %bb.222:
	v_cvt_f32_u32_e32 v29, s38
	s_sub_i32 s1, 0, s38
	s_delay_alu instid0(VALU_DEP_1) | instskip(SKIP_2) | instid1(VALU_DEP_1)
	v_rcp_iflag_f32_e32 v29, v29
	s_waitcnt_depctr 0xfff
	v_mul_f32_e32 v29, 0x4f7ffffe, v29
	v_cvt_u32_f32_e32 v29, v29
	s_delay_alu instid0(VALU_DEP_1) | instskip(NEXT) | instid1(VALU_DEP_1)
	v_mul_lo_u32 v30, s1, v29
	v_mul_hi_u32 v30, v29, v30
	s_delay_alu instid0(VALU_DEP_1) | instskip(NEXT) | instid1(VALU_DEP_1)
	v_add_nc_u32_e32 v29, v29, v30
	v_mul_hi_u32 v29, v33, v29
	s_delay_alu instid0(VALU_DEP_1) | instskip(NEXT) | instid1(VALU_DEP_1)
	v_mul_lo_u32 v30, v29, s38
	v_sub_nc_u32_e32 v30, v33, v30
	v_add_nc_u32_e32 v33, 1, v29
	s_delay_alu instid0(VALU_DEP_2) | instskip(SKIP_1) | instid1(VALU_DEP_2)
	v_subrev_nc_u32_e32 v34, s38, v30
	v_cmp_le_u32_e32 vcc_lo, s38, v30
	v_dual_cndmask_b32 v30, v30, v34 :: v_dual_cndmask_b32 v29, v29, v33
	s_delay_alu instid0(VALU_DEP_1) | instskip(NEXT) | instid1(VALU_DEP_2)
	v_cmp_le_u32_e32 vcc_lo, s38, v30
	v_dual_mov_b32 v30, 0 :: v_dual_add_nc_u32 v33, 1, v29
	s_delay_alu instid0(VALU_DEP_1)
	v_cndmask_b32_e32 v29, v29, v33, vcc_lo
.LBB21_223:
	s_or_b32 exec_lo, exec_lo, s0
	v_add_co_u32 v33, vcc_lo, 0xf00, v31
	v_add_co_ci_u32_e32 v34, vcc_lo, 0, v32, vcc_lo
	v_mov_b32_e32 v31, 0
	s_delay_alu instid0(VALU_DEP_2) | instskip(NEXT) | instid1(VALU_DEP_1)
	v_or_b32_e32 v32, s39, v34
	v_cmp_ne_u64_e32 vcc_lo, 0, v[31:32]
                                        ; implicit-def: $vgpr31_vgpr32
	s_and_saveexec_b32 s0, vcc_lo
	s_delay_alu instid0(SALU_CYCLE_1)
	s_xor_b32 s1, exec_lo, s0
	s_cbranch_execz .LBB21_225
; %bb.224:
	v_cvt_f32_u32_e32 v31, s38
	v_cvt_f32_u32_e32 v32, s39
	s_sub_u32 s0, 0, s38
	s_subb_u32 s4, 0, s39
	s_delay_alu instid0(VALU_DEP_1) | instskip(NEXT) | instid1(VALU_DEP_1)
	v_fmamk_f32 v31, v32, 0x4f800000, v31
	v_rcp_f32_e32 v31, v31
	s_waitcnt_depctr 0xfff
	v_mul_f32_e32 v31, 0x5f7ffffc, v31
	s_delay_alu instid0(VALU_DEP_1) | instskip(NEXT) | instid1(VALU_DEP_1)
	v_mul_f32_e32 v32, 0x2f800000, v31
	v_trunc_f32_e32 v32, v32
	s_delay_alu instid0(VALU_DEP_1) | instskip(SKIP_1) | instid1(VALU_DEP_2)
	v_fmamk_f32 v31, v32, 0xcf800000, v31
	v_cvt_u32_f32_e32 v32, v32
	v_cvt_u32_f32_e32 v31, v31
	s_waitcnt lgkmcnt(0)
	s_delay_alu instid0(VALU_DEP_2) | instskip(NEXT) | instid1(VALU_DEP_2)
	v_mul_lo_u32 v35, s0, v32
	v_mul_hi_u32 v36, s0, v31
	v_mul_lo_u32 v37, s4, v31
	s_delay_alu instid0(VALU_DEP_2) | instskip(SKIP_1) | instid1(VALU_DEP_2)
	v_add_nc_u32_e32 v35, v36, v35
	v_mul_lo_u32 v36, s0, v31
	v_add_nc_u32_e32 v35, v35, v37
	s_delay_alu instid0(VALU_DEP_2) | instskip(NEXT) | instid1(VALU_DEP_2)
	v_mul_hi_u32 v37, v31, v36
	v_mul_lo_u32 v38, v31, v35
	v_mul_hi_u32 v39, v31, v35
	v_mul_hi_u32 v40, v32, v36
	v_mul_lo_u32 v36, v32, v36
	v_mul_hi_u32 v41, v32, v35
	v_mul_lo_u32 v35, v32, v35
	v_add_co_u32 v37, vcc_lo, v37, v38
	v_add_co_ci_u32_e32 v38, vcc_lo, 0, v39, vcc_lo
	s_delay_alu instid0(VALU_DEP_2) | instskip(NEXT) | instid1(VALU_DEP_2)
	v_add_co_u32 v36, vcc_lo, v37, v36
	v_add_co_ci_u32_e32 v36, vcc_lo, v38, v40, vcc_lo
	v_add_co_ci_u32_e32 v37, vcc_lo, 0, v41, vcc_lo
	s_delay_alu instid0(VALU_DEP_2) | instskip(NEXT) | instid1(VALU_DEP_2)
	v_add_co_u32 v35, vcc_lo, v36, v35
	v_add_co_ci_u32_e32 v36, vcc_lo, 0, v37, vcc_lo
	s_delay_alu instid0(VALU_DEP_2) | instskip(NEXT) | instid1(VALU_DEP_2)
	v_add_co_u32 v31, vcc_lo, v31, v35
	v_add_co_ci_u32_e32 v32, vcc_lo, v32, v36, vcc_lo
	s_delay_alu instid0(VALU_DEP_2) | instskip(SKIP_1) | instid1(VALU_DEP_3)
	v_mul_hi_u32 v35, s0, v31
	v_mul_lo_u32 v37, s4, v31
	v_mul_lo_u32 v36, s0, v32
	s_delay_alu instid0(VALU_DEP_1) | instskip(SKIP_1) | instid1(VALU_DEP_2)
	v_add_nc_u32_e32 v35, v35, v36
	v_mul_lo_u32 v36, s0, v31
	v_add_nc_u32_e32 v35, v35, v37
	s_delay_alu instid0(VALU_DEP_2) | instskip(NEXT) | instid1(VALU_DEP_2)
	v_mul_hi_u32 v37, v31, v36
	v_mul_lo_u32 v38, v31, v35
	v_mul_hi_u32 v39, v31, v35
	v_mul_hi_u32 v40, v32, v36
	v_mul_lo_u32 v36, v32, v36
	v_mul_hi_u32 v41, v32, v35
	v_mul_lo_u32 v35, v32, v35
	v_add_co_u32 v37, vcc_lo, v37, v38
	v_add_co_ci_u32_e32 v38, vcc_lo, 0, v39, vcc_lo
	s_delay_alu instid0(VALU_DEP_2) | instskip(NEXT) | instid1(VALU_DEP_2)
	v_add_co_u32 v36, vcc_lo, v37, v36
	v_add_co_ci_u32_e32 v36, vcc_lo, v38, v40, vcc_lo
	v_add_co_ci_u32_e32 v37, vcc_lo, 0, v41, vcc_lo
	s_delay_alu instid0(VALU_DEP_2) | instskip(NEXT) | instid1(VALU_DEP_2)
	v_add_co_u32 v35, vcc_lo, v36, v35
	v_add_co_ci_u32_e32 v36, vcc_lo, 0, v37, vcc_lo
	s_delay_alu instid0(VALU_DEP_2) | instskip(NEXT) | instid1(VALU_DEP_2)
	v_add_co_u32 v37, vcc_lo, v31, v35
	v_add_co_ci_u32_e32 v39, vcc_lo, v32, v36, vcc_lo
	s_delay_alu instid0(VALU_DEP_2) | instskip(SKIP_1) | instid1(VALU_DEP_3)
	v_mul_hi_u32 v40, v33, v37
	v_mad_u64_u32 v[35:36], null, v34, v37, 0
	v_mad_u64_u32 v[31:32], null, v33, v39, 0
	;; [unrolled: 1-line block ×3, first 2 shown]
	s_delay_alu instid0(VALU_DEP_2) | instskip(NEXT) | instid1(VALU_DEP_3)
	v_add_co_u32 v31, vcc_lo, v40, v31
	v_add_co_ci_u32_e32 v32, vcc_lo, 0, v32, vcc_lo
	s_delay_alu instid0(VALU_DEP_2) | instskip(NEXT) | instid1(VALU_DEP_2)
	v_add_co_u32 v31, vcc_lo, v31, v35
	v_add_co_ci_u32_e32 v31, vcc_lo, v32, v36, vcc_lo
	v_add_co_ci_u32_e32 v32, vcc_lo, 0, v38, vcc_lo
	s_delay_alu instid0(VALU_DEP_2) | instskip(NEXT) | instid1(VALU_DEP_2)
	v_add_co_u32 v35, vcc_lo, v31, v37
	v_add_co_ci_u32_e32 v36, vcc_lo, 0, v32, vcc_lo
	s_delay_alu instid0(VALU_DEP_2) | instskip(SKIP_1) | instid1(VALU_DEP_3)
	v_mul_lo_u32 v37, s39, v35
	v_mad_u64_u32 v[31:32], null, s38, v35, 0
	v_mul_lo_u32 v38, s38, v36
	s_delay_alu instid0(VALU_DEP_2) | instskip(NEXT) | instid1(VALU_DEP_2)
	v_sub_co_u32 v31, vcc_lo, v33, v31
	v_add3_u32 v32, v32, v38, v37
	s_delay_alu instid0(VALU_DEP_1) | instskip(NEXT) | instid1(VALU_DEP_1)
	v_sub_nc_u32_e32 v37, v34, v32
	v_subrev_co_ci_u32_e64 v33, s0, s39, v37, vcc_lo
	v_add_co_u32 v37, s0, v35, 2
	s_delay_alu instid0(VALU_DEP_1) | instskip(SKIP_3) | instid1(VALU_DEP_3)
	v_add_co_ci_u32_e64 v38, s0, 0, v36, s0
	v_sub_co_u32 v39, s0, v31, s38
	v_sub_co_ci_u32_e32 v32, vcc_lo, v34, v32, vcc_lo
	v_subrev_co_ci_u32_e64 v33, s0, 0, v33, s0
	v_cmp_le_u32_e32 vcc_lo, s38, v39
	s_delay_alu instid0(VALU_DEP_3) | instskip(SKIP_1) | instid1(VALU_DEP_4)
	v_cmp_eq_u32_e64 s0, s39, v32
	v_cndmask_b32_e64 v34, 0, -1, vcc_lo
	v_cmp_le_u32_e32 vcc_lo, s39, v33
	v_cndmask_b32_e64 v39, 0, -1, vcc_lo
	v_cmp_le_u32_e32 vcc_lo, s38, v31
	;; [unrolled: 2-line block ×3, first 2 shown]
	v_cndmask_b32_e64 v40, 0, -1, vcc_lo
	v_cmp_eq_u32_e32 vcc_lo, s39, v33
	s_delay_alu instid0(VALU_DEP_2) | instskip(SKIP_3) | instid1(VALU_DEP_3)
	v_cndmask_b32_e64 v31, v40, v31, s0
	v_cndmask_b32_e32 v33, v39, v34, vcc_lo
	v_add_co_u32 v34, vcc_lo, v35, 1
	v_add_co_ci_u32_e32 v39, vcc_lo, 0, v36, vcc_lo
	v_cmp_ne_u32_e32 vcc_lo, 0, v33
	s_delay_alu instid0(VALU_DEP_2) | instskip(SKIP_1) | instid1(VALU_DEP_2)
	v_dual_cndmask_b32 v32, v39, v38 :: v_dual_cndmask_b32 v33, v34, v37
	v_cmp_ne_u32_e32 vcc_lo, 0, v31
	v_dual_cndmask_b32 v32, v36, v32 :: v_dual_cndmask_b32 v31, v35, v33
                                        ; implicit-def: $vgpr33
.LBB21_225:
	s_and_not1_saveexec_b32 s0, s1
	s_cbranch_execz .LBB21_227
; %bb.226:
	v_cvt_f32_u32_e32 v31, s38
	s_sub_i32 s1, 0, s38
	s_delay_alu instid0(VALU_DEP_1) | instskip(SKIP_2) | instid1(VALU_DEP_1)
	v_rcp_iflag_f32_e32 v31, v31
	s_waitcnt_depctr 0xfff
	v_mul_f32_e32 v31, 0x4f7ffffe, v31
	v_cvt_u32_f32_e32 v31, v31
	s_delay_alu instid0(VALU_DEP_1) | instskip(NEXT) | instid1(VALU_DEP_1)
	v_mul_lo_u32 v32, s1, v31
	v_mul_hi_u32 v32, v31, v32
	s_delay_alu instid0(VALU_DEP_1) | instskip(NEXT) | instid1(VALU_DEP_1)
	v_add_nc_u32_e32 v31, v31, v32
	v_mul_hi_u32 v31, v33, v31
	s_delay_alu instid0(VALU_DEP_1) | instskip(NEXT) | instid1(VALU_DEP_1)
	v_mul_lo_u32 v32, v31, s38
	v_sub_nc_u32_e32 v32, v33, v32
	v_add_nc_u32_e32 v33, 1, v31
	s_delay_alu instid0(VALU_DEP_2) | instskip(SKIP_1) | instid1(VALU_DEP_2)
	v_subrev_nc_u32_e32 v34, s38, v32
	v_cmp_le_u32_e32 vcc_lo, s38, v32
	v_dual_cndmask_b32 v32, v32, v34 :: v_dual_cndmask_b32 v31, v31, v33
	s_delay_alu instid0(VALU_DEP_1) | instskip(NEXT) | instid1(VALU_DEP_2)
	v_cmp_le_u32_e32 vcc_lo, s38, v32
	v_dual_mov_b32 v32, 0 :: v_dual_add_nc_u32 v33, 1, v31
	s_delay_alu instid0(VALU_DEP_1)
	v_cndmask_b32_e32 v31, v31, v33, vcc_lo
.LBB21_227:
	s_or_b32 exec_lo, exec_lo, s0
	v_or_b32_e32 v33, 0x100, v0
	v_lshrrev_b32_e32 v34, 5, v0
	v_or_b32_e32 v36, 0x200, v0
	v_or_b32_e32 v37, 0x300, v0
	;; [unrolled: 1-line block ×3, first 2 shown]
	v_lshrrev_b32_e32 v33, 5, v33
	s_waitcnt lgkmcnt(0)
	v_add_nc_u32_e32 v35, v34, v0
	v_lshrrev_b32_e32 v34, 5, v36
	v_or_b32_e32 v39, 0x500, v0
	v_or_b32_e32 v41, 0x600, v0
	v_add_nc_u32_e32 v36, v33, v0
	v_lshrrev_b32_e32 v33, 5, v37
	v_lshrrev_b32_e32 v37, 5, v38
	v_lshlrev_b32_e32 v42, 3, v35
	v_add_nc_u32_e32 v40, v34, v0
	v_lshlrev_b32_e32 v43, 3, v36
	v_add_nc_u32_e32 v38, v33, v0
	v_add_nc_u32_e32 v37, v37, v0
	v_lshrrev_b32_e32 v39, 5, v39
	ds_store_b64 v42, v[1:2]
	ds_store_b64 v43, v[3:4] offset:2048
	v_lshlrev_b32_e32 v1, 3, v40
	v_lshrrev_b32_e32 v4, 5, v41
	v_lshlrev_b32_e32 v2, 3, v38
	v_lshlrev_b32_e32 v3, 3, v37
	v_add_nc_u32_e32 v39, v39, v0
	ds_store_b64 v1, v[5:6] offset:4096
	ds_store_b64 v2, v[7:8] offset:6144
	;; [unrolled: 1-line block ×3, first 2 shown]
	v_add_nc_u32_e32 v41, v4, v0
	v_or_b32_e32 v1, 0x700, v0
	v_lshlrev_b32_e32 v33, 3, v39
	v_or_b32_e32 v5, 0xa00, v0
	v_or_b32_e32 v2, 0x800, v0
	v_lshlrev_b32_e32 v4, 3, v41
	v_lshrrev_b32_e32 v1, 5, v1
	v_or_b32_e32 v3, 0x900, v0
	ds_store_b64 v33, v[11:12] offset:10240
	v_lshrrev_b32_e32 v2, 5, v2
	ds_store_b64 v4, v[13:14] offset:12288
	v_lshrrev_b32_e32 v4, 5, v5
	v_add_nc_u32_e32 v44, v1, v0
	v_or_b32_e32 v1, 0xb00, v0
	v_lshrrev_b32_e32 v3, 5, v3
	v_add_nc_u32_e32 v43, v2, v0
	v_add_nc_u32_e32 v45, v4, v0
	v_lshlrev_b32_e32 v2, 3, v44
	v_lshrrev_b32_e32 v1, 5, v1
	v_add_nc_u32_e32 v42, v3, v0
	v_lshlrev_b32_e32 v3, 3, v43
	v_lshlrev_b32_e32 v5, 3, v45
	s_cmp_eq_u64 s[42:43], 0
	v_add_nc_u32_e32 v46, v1, v0
	v_or_b32_e32 v1, 0xc00, v0
	v_lshlrev_b32_e32 v4, 3, v42
	ds_store_b64 v2, v[15:16] offset:14336
	ds_store_b64 v3, v[17:18] offset:16384
	;; [unrolled: 1-line block ×4, first 2 shown]
	v_lshlrev_b32_e32 v4, 3, v46
	v_or_b32_e32 v5, 0xf00, v0
	v_lshrrev_b32_e32 v1, 5, v1
	v_or_b32_e32 v2, 0xd00, v0
	v_or_b32_e32 v3, 0xe00, v0
	ds_store_b64 v4, v[23:24] offset:22528
	v_lshrrev_b32_e32 v4, 5, v5
	v_add_nc_u32_e32 v49, v1, v0
	v_lshrrev_b32_e32 v1, 1, v0
	v_lshrrev_b32_e32 v2, 5, v2
	;; [unrolled: 1-line block ×3, first 2 shown]
	v_add_nc_u32_e32 v51, v4, v0
	s_delay_alu instid0(VALU_DEP_4) | instskip(NEXT) | instid1(VALU_DEP_4)
	v_lshl_add_u32 v50, v0, 4, v1
	v_add_nc_u32_e32 v48, v2, v0
	s_delay_alu instid0(VALU_DEP_4)
	v_add_nc_u32_e32 v47, v3, v0
	v_lshlrev_b32_e32 v2, 3, v49
	v_lshlrev_b32_e32 v1, 3, v51
	;; [unrolled: 1-line block ×5, first 2 shown]
	ds_store_b64 v2, v[25:26] offset:24576
	ds_store_b64 v3, v[27:28] offset:26624
	;; [unrolled: 1-line block ×4, first 2 shown]
	s_waitcnt lgkmcnt(0)
	s_barrier
	buffer_gl0_inv
	ds_load_2addr_b64 v[29:32], v5 offset1:1
	ds_load_2addr_b64 v[25:28], v5 offset0:2 offset1:3
	ds_load_2addr_b64 v[21:24], v5 offset0:4 offset1:5
	ds_load_2addr_b64 v[17:20], v5 offset0:6 offset1:7
	ds_load_2addr_b64 v[13:16], v5 offset0:8 offset1:9
	ds_load_2addr_b64 v[9:12], v5 offset0:10 offset1:11
	ds_load_2addr_b64 v[1:4], v5 offset0:12 offset1:13
	ds_load_2addr_b64 v[5:8], v5 offset0:14 offset1:15
	s_cbranch_scc1 .LBB21_245
; %bb.228:
	s_and_not1_b32 vcc_lo, exec_lo, s51
	s_cbranch_vccnz .LBB21_246
; %bb.229:
	s_lshl_b64 s[0:1], s[42:43], 3
	s_delay_alu instid0(SALU_CYCLE_1)
	s_add_u32 s0, s26, s0
	s_addc_u32 s1, s27, s1
	s_add_u32 s0, s0, -8
	s_addc_u32 s1, s1, -1
	s_load_b64 s[0:1], s[0:1], 0x0
	s_waitcnt lgkmcnt(0)
	v_dual_mov_b32 v34, s1 :: v_dual_mov_b32 v33, s0
	s_cbranch_execz .LBB21_247
	s_branch .LBB21_250
.LBB21_230:
	v_lshlrev_b32_e32 v63, 2, v0
	s_delay_alu instid0(VALU_DEP_1) | instskip(NEXT) | instid1(VALU_DEP_1)
	v_add_co_u32 v63, s0, s33, v63
	v_add_co_ci_u32_e64 v64, null, s50, 0, s0
	flat_load_b32 v63, v[63:64]
	s_or_b32 exec_lo, exec_lo, s18
                                        ; implicit-def: $vgpr64
	s_and_saveexec_b32 s0, s1
	s_cbranch_execz .LBB21_117
.LBB21_231:
	v_lshlrev_b32_e32 v64, 2, v0
	s_delay_alu instid0(VALU_DEP_1) | instskip(NEXT) | instid1(VALU_DEP_1)
	v_add_co_u32 v68, s1, s33, v64
	v_add_co_ci_u32_e64 v69, null, s50, 0, s1
	flat_load_b32 v64, v[68:69] offset:1024
	s_or_b32 exec_lo, exec_lo, s0
                                        ; implicit-def: $vgpr66
	s_and_saveexec_b32 s0, s4
	s_cbranch_execz .LBB21_118
.LBB21_232:
	v_lshlrev_b32_e32 v66, 2, v0
	s_delay_alu instid0(VALU_DEP_1) | instskip(NEXT) | instid1(VALU_DEP_1)
	v_add_co_u32 v68, s1, s33, v66
	v_add_co_ci_u32_e64 v69, null, s50, 0, s1
	flat_load_b32 v66, v[68:69] offset:2048
	s_or_b32 exec_lo, exec_lo, s0
                                        ; implicit-def: $vgpr68
	s_and_saveexec_b32 s0, s5
	s_cbranch_execz .LBB21_119
.LBB21_233:
	v_lshlrev_b32_e32 v68, 2, v0
	s_delay_alu instid0(VALU_DEP_1) | instskip(NEXT) | instid1(VALU_DEP_1)
	v_add_co_u32 v68, s1, s33, v68
	v_add_co_ci_u32_e64 v69, null, s50, 0, s1
	flat_load_b32 v68, v[68:69] offset:3072
	s_or_b32 exec_lo, exec_lo, s0
                                        ; implicit-def: $vgpr69
	s_and_saveexec_b32 s0, s6
	s_cbranch_execz .LBB21_120
.LBB21_234:
	v_lshlrev_b32_e32 v36, 2, v36
	s_delay_alu instid0(VALU_DEP_1) | instskip(NEXT) | instid1(VALU_DEP_1)
	v_add_co_u32 v69, s1, s33, v36
	v_add_co_ci_u32_e64 v70, null, s50, 0, s1
	flat_load_b32 v69, v[69:70]
	s_or_b32 exec_lo, exec_lo, s0
                                        ; implicit-def: $vgpr36
	s_and_saveexec_b32 s0, s7
	s_cbranch_execz .LBB21_121
.LBB21_235:
	v_lshlrev_b32_e32 v36, 2, v38
	s_delay_alu instid0(VALU_DEP_1) | instskip(NEXT) | instid1(VALU_DEP_1)
	v_add_co_u32 v70, s1, s33, v36
	v_add_co_ci_u32_e64 v71, null, s50, 0, s1
	flat_load_b32 v36, v[70:71]
	s_or_b32 exec_lo, exec_lo, s0
                                        ; implicit-def: $vgpr38
	s_and_saveexec_b32 s0, s8
	s_cbranch_execz .LBB21_122
.LBB21_236:
	v_lshlrev_b32_e32 v38, 2, v40
	s_delay_alu instid0(VALU_DEP_1) | instskip(NEXT) | instid1(VALU_DEP_1)
	v_add_co_u32 v70, s1, s33, v38
	v_add_co_ci_u32_e64 v71, null, s50, 0, s1
	flat_load_b32 v38, v[70:71]
	s_or_b32 exec_lo, exec_lo, s0
                                        ; implicit-def: $vgpr40
	s_and_saveexec_b32 s0, s9
	s_cbranch_execz .LBB21_123
.LBB21_237:
	v_lshlrev_b32_e32 v40, 2, v41
	s_delay_alu instid0(VALU_DEP_1) | instskip(NEXT) | instid1(VALU_DEP_1)
	v_add_co_u32 v40, s1, s33, v40
	v_add_co_ci_u32_e64 v41, null, s50, 0, s1
	flat_load_b32 v40, v[40:41]
	s_or_b32 exec_lo, exec_lo, s0
                                        ; implicit-def: $vgpr41
	s_and_saveexec_b32 s0, s10
	s_cbranch_execz .LBB21_124
.LBB21_238:
	v_lshlrev_b32_e32 v41, 2, v42
	s_delay_alu instid0(VALU_DEP_1) | instskip(NEXT) | instid1(VALU_DEP_1)
	v_add_co_u32 v41, s1, s33, v41
	v_add_co_ci_u32_e64 v42, null, s50, 0, s1
	flat_load_b32 v41, v[41:42]
	s_or_b32 exec_lo, exec_lo, s0
                                        ; implicit-def: $vgpr42
	s_and_saveexec_b32 s0, s11
	s_cbranch_execz .LBB21_125
.LBB21_239:
	v_lshlrev_b32_e32 v42, 2, v43
	s_delay_alu instid0(VALU_DEP_1) | instskip(NEXT) | instid1(VALU_DEP_1)
	v_add_co_u32 v42, s1, s33, v42
	v_add_co_ci_u32_e64 v43, null, s50, 0, s1
	flat_load_b32 v42, v[42:43]
	s_or_b32 exec_lo, exec_lo, s0
                                        ; implicit-def: $vgpr43
	s_and_saveexec_b32 s0, s12
	s_cbranch_execz .LBB21_126
.LBB21_240:
	v_lshlrev_b32_e32 v43, 2, v44
	s_delay_alu instid0(VALU_DEP_1) | instskip(NEXT) | instid1(VALU_DEP_1)
	v_add_co_u32 v43, s1, s33, v43
	v_add_co_ci_u32_e64 v44, null, s50, 0, s1
	flat_load_b32 v43, v[43:44]
	s_or_b32 exec_lo, exec_lo, s0
                                        ; implicit-def: $vgpr44
	s_and_saveexec_b32 s0, s13
	s_cbranch_execz .LBB21_127
.LBB21_241:
	v_lshlrev_b32_e32 v44, 2, v45
	s_delay_alu instid0(VALU_DEP_1) | instskip(NEXT) | instid1(VALU_DEP_1)
	v_add_co_u32 v44, s1, s33, v44
	v_add_co_ci_u32_e64 v45, null, s50, 0, s1
	flat_load_b32 v44, v[44:45]
	s_or_b32 exec_lo, exec_lo, s0
                                        ; implicit-def: $vgpr45
	s_and_saveexec_b32 s0, s14
	s_cbranch_execz .LBB21_128
.LBB21_242:
	v_lshlrev_b32_e32 v45, 2, v46
	s_delay_alu instid0(VALU_DEP_1) | instskip(NEXT) | instid1(VALU_DEP_1)
	v_add_co_u32 v45, s1, s33, v45
	v_add_co_ci_u32_e64 v46, null, s50, 0, s1
	flat_load_b32 v45, v[45:46]
	s_or_b32 exec_lo, exec_lo, s0
                                        ; implicit-def: $vgpr46
	s_and_saveexec_b32 s0, s15
	s_cbranch_execz .LBB21_129
.LBB21_243:
	v_lshlrev_b32_e32 v46, 2, v47
	s_delay_alu instid0(VALU_DEP_1) | instskip(NEXT) | instid1(VALU_DEP_1)
	v_add_co_u32 v46, s1, s33, v46
	v_add_co_ci_u32_e64 v47, null, s50, 0, s1
	flat_load_b32 v46, v[46:47]
	s_or_b32 exec_lo, exec_lo, s0
                                        ; implicit-def: $vgpr47
	s_and_saveexec_b32 s0, s16
	s_cbranch_execz .LBB21_130
.LBB21_244:
	v_lshlrev_b32_e32 v47, 2, v48
	s_delay_alu instid0(VALU_DEP_1) | instskip(NEXT) | instid1(VALU_DEP_1)
	v_add_co_u32 v47, s1, s33, v47
	v_add_co_ci_u32_e64 v48, null, s50, 0, s1
	flat_load_b32 v47, v[47:48]
	s_or_b32 exec_lo, exec_lo, s0
                                        ; implicit-def: $vgpr48
	s_and_saveexec_b32 s0, s17
	s_cbranch_execnz .LBB21_131
	s_branch .LBB21_132
.LBB21_245:
                                        ; implicit-def: $vgpr33_vgpr34
	s_branch .LBB21_251
.LBB21_246:
                                        ; implicit-def: $sgpr0_sgpr1
	v_dual_mov_b32 v34, s1 :: v_dual_mov_b32 v33, s0
.LBB21_247:
	s_add_u32 s4, s40, -1
	s_addc_u32 s5, s41, -1
	s_delay_alu instid0(SALU_CYCLE_1) | instskip(SKIP_1) | instid1(SALU_CYCLE_1)
	s_or_b64 s[6:7], s[4:5], s[38:39]
	s_mov_b32 s6, 0
	s_cmp_lg_u64 s[6:7], 0
	s_cbranch_scc0 .LBB21_355
; %bb.248:
	v_cvt_f32_u32_e32 v33, s38
	v_cvt_f32_u32_e32 v34, s39
	s_sub_u32 s7, 0, s38
	s_subb_u32 s8, 0, s39
	s_delay_alu instid0(VALU_DEP_1) | instskip(NEXT) | instid1(VALU_DEP_1)
	v_fmamk_f32 v33, v34, 0x4f800000, v33
	v_rcp_f32_e32 v33, v33
	s_waitcnt_depctr 0xfff
	v_mul_f32_e32 v33, 0x5f7ffffc, v33
	s_delay_alu instid0(VALU_DEP_1) | instskip(NEXT) | instid1(VALU_DEP_1)
	v_mul_f32_e32 v34, 0x2f800000, v33
	v_trunc_f32_e32 v34, v34
	s_delay_alu instid0(VALU_DEP_1) | instskip(SKIP_1) | instid1(VALU_DEP_2)
	v_fmamk_f32 v33, v34, 0xcf800000, v33
	v_cvt_u32_f32_e32 v34, v34
	v_cvt_u32_f32_e32 v33, v33
	s_delay_alu instid0(VALU_DEP_2) | instskip(NEXT) | instid1(VALU_DEP_2)
	v_readfirstlane_b32 s0, v34
	v_readfirstlane_b32 s1, v33
	s_delay_alu instid0(VALU_DEP_2) | instskip(NEXT) | instid1(VALU_DEP_1)
	s_mul_i32 s9, s7, s0
	s_mul_hi_u32 s11, s7, s1
	s_mul_i32 s10, s8, s1
	s_add_i32 s9, s11, s9
	s_mul_i32 s12, s7, s1
	s_add_i32 s9, s9, s10
	s_mul_hi_u32 s11, s1, s12
	s_mul_hi_u32 s13, s0, s12
	s_mul_i32 s10, s0, s12
	s_mul_hi_u32 s12, s1, s9
	s_mul_i32 s1, s1, s9
	s_mul_hi_u32 s14, s0, s9
	s_add_u32 s1, s11, s1
	s_addc_u32 s11, 0, s12
	s_add_u32 s1, s1, s10
	s_mul_i32 s9, s0, s9
	s_addc_u32 s1, s11, s13
	s_addc_u32 s10, s14, 0
	s_add_u32 s1, s1, s9
	s_addc_u32 s9, 0, s10
	v_add_co_u32 v33, s1, v33, s1
	s_delay_alu instid0(VALU_DEP_1) | instskip(SKIP_1) | instid1(VALU_DEP_1)
	s_cmp_lg_u32 s1, 0
	s_addc_u32 s0, s0, s9
	v_readfirstlane_b32 s1, v33
	s_mul_i32 s9, s7, s0
	s_delay_alu instid0(VALU_DEP_1)
	s_mul_hi_u32 s10, s7, s1
	s_mul_i32 s8, s8, s1
	s_add_i32 s9, s10, s9
	s_mul_i32 s7, s7, s1
	s_add_i32 s9, s9, s8
	s_mul_hi_u32 s10, s0, s7
	s_mul_i32 s11, s0, s7
	s_mul_hi_u32 s7, s1, s7
	s_mul_hi_u32 s12, s1, s9
	s_mul_i32 s1, s1, s9
	s_mul_hi_u32 s8, s0, s9
	s_add_u32 s1, s7, s1
	s_addc_u32 s7, 0, s12
	s_add_u32 s1, s1, s11
	s_mul_i32 s9, s0, s9
	s_addc_u32 s1, s7, s10
	s_addc_u32 s7, s8, 0
	s_add_u32 s1, s1, s9
	s_addc_u32 s7, 0, s7
	v_add_co_u32 v33, s1, v33, s1
	s_delay_alu instid0(VALU_DEP_1) | instskip(SKIP_1) | instid1(VALU_DEP_1)
	s_cmp_lg_u32 s1, 0
	s_addc_u32 s0, s0, s7
	v_readfirstlane_b32 s1, v33
	s_mul_i32 s8, s4, s0
	s_mul_hi_u32 s7, s4, s0
	s_mul_hi_u32 s9, s5, s0
	s_mul_i32 s0, s5, s0
	s_mul_hi_u32 s10, s4, s1
	s_mul_hi_u32 s11, s5, s1
	s_mul_i32 s1, s5, s1
	s_add_u32 s8, s10, s8
	s_addc_u32 s7, 0, s7
	s_add_u32 s1, s8, s1
	s_addc_u32 s1, s7, s11
	s_addc_u32 s7, s9, 0
	s_add_u32 s1, s1, s0
	s_addc_u32 s7, 0, s7
	s_mul_hi_u32 s0, s38, s1
	s_mul_i32 s9, s38, s7
	s_mul_i32 s10, s38, s1
	s_add_i32 s0, s0, s9
	v_sub_co_u32 v33, s9, s4, s10
	s_mul_i32 s8, s39, s1
	s_delay_alu instid0(SALU_CYCLE_1) | instskip(NEXT) | instid1(VALU_DEP_1)
	s_add_i32 s0, s0, s8
	v_sub_co_u32 v34, s10, v33, s38
	s_sub_i32 s8, s5, s0
	s_cmp_lg_u32 s9, 0
	s_subb_u32 s8, s8, s39
	s_cmp_lg_u32 s10, 0
	v_cmp_le_u32_e32 vcc_lo, s38, v34
	s_subb_u32 s8, s8, 0
	s_delay_alu instid0(SALU_CYCLE_1)
	s_cmp_ge_u32 s8, s39
	v_cndmask_b32_e64 v34, 0, -1, vcc_lo
	s_cselect_b32 s10, -1, 0
	s_cmp_eq_u32 s8, s39
	s_cselect_b32 vcc_lo, -1, 0
	s_add_u32 s8, s1, 1
	v_cndmask_b32_e32 v34, s10, v34, vcc_lo
	s_addc_u32 s10, s7, 0
	s_add_u32 s11, s1, 2
	s_addc_u32 s12, s7, 0
	s_cmp_lg_u32 s9, 0
	v_cmp_le_u32_e32 vcc_lo, s38, v33
	s_subb_u32 s0, s5, s0
	v_mov_b32_e32 v52, s11
	s_cmp_ge_u32 s0, s39
	v_cndmask_b32_e64 v33, 0, -1, vcc_lo
	s_cselect_b32 s5, -1, 0
	s_cmp_eq_u32 s0, s39
	v_cmp_ne_u32_e32 vcc_lo, 0, v34
	v_mov_b32_e32 v34, s12
	s_cselect_b32 s0, -1, 0
	s_delay_alu instid0(SALU_CYCLE_1) | instskip(SKIP_1) | instid1(VALU_DEP_3)
	v_cndmask_b32_e64 v33, s5, v33, s0
	v_cndmask_b32_e32 v52, s8, v52, vcc_lo
	v_cndmask_b32_e32 v34, s10, v34, vcc_lo
	s_delay_alu instid0(VALU_DEP_3) | instskip(NEXT) | instid1(VALU_DEP_2)
	v_cmp_ne_u32_e32 vcc_lo, 0, v33
	v_cndmask_b32_e32 v34, s7, v34, vcc_lo
	s_delay_alu instid0(VALU_DEP_4)
	v_cndmask_b32_e32 v33, s1, v52, vcc_lo
	s_and_not1_b32 vcc_lo, exec_lo, s6
	s_cbranch_vccnz .LBB21_250
.LBB21_249:
	v_cvt_f32_u32_e32 v33, s38
	s_sub_i32 s1, 0, s38
	s_delay_alu instid0(VALU_DEP_1) | instskip(SKIP_2) | instid1(VALU_DEP_1)
	v_rcp_iflag_f32_e32 v33, v33
	s_waitcnt_depctr 0xfff
	v_mul_f32_e32 v33, 0x4f7ffffe, v33
	v_cvt_u32_f32_e32 v33, v33
	s_delay_alu instid0(VALU_DEP_1) | instskip(NEXT) | instid1(VALU_DEP_1)
	v_readfirstlane_b32 s0, v33
	s_mul_i32 s1, s1, s0
	s_delay_alu instid0(SALU_CYCLE_1) | instskip(NEXT) | instid1(SALU_CYCLE_1)
	s_mul_hi_u32 s1, s0, s1
	s_add_i32 s0, s0, s1
	s_delay_alu instid0(SALU_CYCLE_1) | instskip(NEXT) | instid1(SALU_CYCLE_1)
	s_mul_hi_u32 s0, s4, s0
	s_mul_i32 s1, s0, s38
	s_delay_alu instid0(SALU_CYCLE_1)
	s_sub_i32 s1, s4, s1
	s_add_i32 s4, s0, 1
	s_sub_i32 s5, s1, s38
	s_cmp_ge_u32 s1, s38
	s_cselect_b32 s0, s4, s0
	s_cselect_b32 s1, s5, s1
	s_add_i32 s4, s0, 1
	s_cmp_ge_u32 s1, s38
	s_mov_b32 s1, 0
	s_cselect_b32 s0, s4, s0
	s_delay_alu instid0(SALU_CYCLE_1)
	v_dual_mov_b32 v34, s1 :: v_dual_mov_b32 v33, s0
.LBB21_250:
	s_cbranch_execnz .LBB21_254
.LBB21_251:
	s_or_b64 s[4:5], s[40:41], s[38:39]
	s_mov_b32 s4, 0
	s_delay_alu instid0(SALU_CYCLE_1)
	s_cmp_lg_u64 s[4:5], 0
	s_cbranch_scc0 .LBB21_353
; %bb.252:
	v_cvt_f32_u32_e32 v33, s38
	v_cvt_f32_u32_e32 v34, s39
	s_sub_u32 s5, 0, s38
	s_subb_u32 s6, 0, s39
	s_delay_alu instid0(VALU_DEP_1) | instskip(NEXT) | instid1(VALU_DEP_1)
	v_fmamk_f32 v33, v34, 0x4f800000, v33
	v_rcp_f32_e32 v33, v33
	s_waitcnt_depctr 0xfff
	v_mul_f32_e32 v33, 0x5f7ffffc, v33
	s_delay_alu instid0(VALU_DEP_1) | instskip(NEXT) | instid1(VALU_DEP_1)
	v_mul_f32_e32 v34, 0x2f800000, v33
	v_trunc_f32_e32 v34, v34
	s_delay_alu instid0(VALU_DEP_1) | instskip(SKIP_1) | instid1(VALU_DEP_2)
	v_fmamk_f32 v33, v34, 0xcf800000, v33
	v_cvt_u32_f32_e32 v34, v34
	v_cvt_u32_f32_e32 v33, v33
	s_delay_alu instid0(VALU_DEP_2) | instskip(NEXT) | instid1(VALU_DEP_2)
	v_readfirstlane_b32 s0, v34
	v_readfirstlane_b32 s1, v33
	s_delay_alu instid0(VALU_DEP_2) | instskip(NEXT) | instid1(VALU_DEP_1)
	s_mul_i32 s7, s5, s0
	s_mul_hi_u32 s9, s5, s1
	s_mul_i32 s8, s6, s1
	s_add_i32 s7, s9, s7
	s_mul_i32 s10, s5, s1
	s_add_i32 s7, s7, s8
	s_mul_hi_u32 s9, s1, s10
	s_mul_hi_u32 s11, s0, s10
	s_mul_i32 s8, s0, s10
	s_mul_hi_u32 s10, s1, s7
	s_mul_i32 s1, s1, s7
	s_mul_hi_u32 s12, s0, s7
	s_add_u32 s1, s9, s1
	s_addc_u32 s9, 0, s10
	s_add_u32 s1, s1, s8
	s_mul_i32 s7, s0, s7
	s_addc_u32 s1, s9, s11
	s_addc_u32 s8, s12, 0
	s_add_u32 s1, s1, s7
	s_addc_u32 s7, 0, s8
	v_add_co_u32 v33, s1, v33, s1
	s_delay_alu instid0(VALU_DEP_1) | instskip(SKIP_1) | instid1(VALU_DEP_1)
	s_cmp_lg_u32 s1, 0
	s_addc_u32 s0, s0, s7
	v_readfirstlane_b32 s1, v33
	s_mul_i32 s7, s5, s0
	s_delay_alu instid0(VALU_DEP_1)
	s_mul_hi_u32 s8, s5, s1
	s_mul_i32 s6, s6, s1
	s_add_i32 s7, s8, s7
	s_mul_i32 s5, s5, s1
	s_add_i32 s7, s7, s6
	s_mul_hi_u32 s8, s0, s5
	s_mul_i32 s9, s0, s5
	s_mul_hi_u32 s5, s1, s5
	s_mul_hi_u32 s10, s1, s7
	s_mul_i32 s1, s1, s7
	s_mul_hi_u32 s6, s0, s7
	s_add_u32 s1, s5, s1
	s_addc_u32 s5, 0, s10
	s_add_u32 s1, s1, s9
	s_mul_i32 s7, s0, s7
	s_addc_u32 s1, s5, s8
	s_addc_u32 s5, s6, 0
	s_add_u32 s1, s1, s7
	s_addc_u32 s5, 0, s5
	v_add_co_u32 v33, s1, v33, s1
	s_delay_alu instid0(VALU_DEP_1) | instskip(SKIP_1) | instid1(VALU_DEP_1)
	s_cmp_lg_u32 s1, 0
	s_addc_u32 s0, s0, s5
	v_readfirstlane_b32 s1, v33
	s_mul_i32 s6, s40, s0
	s_mul_hi_u32 s5, s40, s0
	s_mul_hi_u32 s7, s41, s0
	s_mul_i32 s0, s41, s0
	s_mul_hi_u32 s8, s40, s1
	s_mul_hi_u32 s9, s41, s1
	s_mul_i32 s1, s41, s1
	s_add_u32 s6, s8, s6
	s_addc_u32 s5, 0, s5
	s_add_u32 s1, s6, s1
	s_addc_u32 s1, s5, s9
	s_addc_u32 s5, s7, 0
	s_add_u32 s1, s1, s0
	s_addc_u32 s5, 0, s5
	s_mul_hi_u32 s0, s38, s1
	s_mul_i32 s7, s38, s5
	s_mul_i32 s8, s38, s1
	s_add_i32 s0, s0, s7
	v_sub_co_u32 v33, s7, s40, s8
	s_mul_i32 s6, s39, s1
	s_delay_alu instid0(SALU_CYCLE_1) | instskip(NEXT) | instid1(VALU_DEP_1)
	s_add_i32 s0, s0, s6
	v_sub_co_u32 v34, s8, v33, s38
	s_sub_i32 s6, s41, s0
	s_cmp_lg_u32 s7, 0
	s_subb_u32 s6, s6, s39
	s_cmp_lg_u32 s8, 0
	v_cmp_le_u32_e32 vcc_lo, s38, v34
	s_subb_u32 s6, s6, 0
	s_delay_alu instid0(SALU_CYCLE_1)
	s_cmp_ge_u32 s6, s39
	v_cndmask_b32_e64 v34, 0, -1, vcc_lo
	s_cselect_b32 s8, -1, 0
	s_cmp_eq_u32 s6, s39
	s_cselect_b32 vcc_lo, -1, 0
	s_add_u32 s6, s1, 1
	v_cndmask_b32_e32 v34, s8, v34, vcc_lo
	s_addc_u32 s8, s5, 0
	s_add_u32 s9, s1, 2
	s_addc_u32 s10, s5, 0
	s_cmp_lg_u32 s7, 0
	v_cmp_le_u32_e32 vcc_lo, s38, v33
	s_subb_u32 s0, s41, s0
	v_mov_b32_e32 v52, s9
	s_cmp_ge_u32 s0, s39
	v_cndmask_b32_e64 v33, 0, -1, vcc_lo
	s_cselect_b32 s7, -1, 0
	s_cmp_eq_u32 s0, s39
	v_cmp_ne_u32_e32 vcc_lo, 0, v34
	v_mov_b32_e32 v34, s10
	s_cselect_b32 s0, -1, 0
	s_delay_alu instid0(SALU_CYCLE_1) | instskip(SKIP_1) | instid1(VALU_DEP_3)
	v_cndmask_b32_e64 v33, s7, v33, s0
	v_cndmask_b32_e32 v52, s6, v52, vcc_lo
	v_cndmask_b32_e32 v34, s8, v34, vcc_lo
	s_delay_alu instid0(VALU_DEP_3) | instskip(NEXT) | instid1(VALU_DEP_2)
	v_cmp_ne_u32_e32 vcc_lo, 0, v33
	v_cndmask_b32_e32 v34, s5, v34, vcc_lo
	s_delay_alu instid0(VALU_DEP_4)
	v_cndmask_b32_e32 v33, s1, v52, vcc_lo
	s_and_not1_b32 vcc_lo, exec_lo, s4
	s_cbranch_vccnz .LBB21_254
.LBB21_253:
	v_cvt_f32_u32_e32 v33, s38
	s_sub_i32 s1, 0, s38
	s_delay_alu instid0(VALU_DEP_1) | instskip(SKIP_2) | instid1(VALU_DEP_1)
	v_rcp_iflag_f32_e32 v33, v33
	s_waitcnt_depctr 0xfff
	v_mul_f32_e32 v33, 0x4f7ffffe, v33
	v_cvt_u32_f32_e32 v33, v33
	s_delay_alu instid0(VALU_DEP_1) | instskip(NEXT) | instid1(VALU_DEP_1)
	v_readfirstlane_b32 s0, v33
	s_mul_i32 s1, s1, s0
	s_delay_alu instid0(SALU_CYCLE_1) | instskip(NEXT) | instid1(SALU_CYCLE_1)
	s_mul_hi_u32 s1, s0, s1
	s_add_i32 s0, s0, s1
	s_delay_alu instid0(SALU_CYCLE_1) | instskip(NEXT) | instid1(SALU_CYCLE_1)
	s_mul_hi_u32 s0, s40, s0
	s_mul_i32 s1, s0, s38
	s_add_i32 s4, s0, 1
	s_sub_i32 s1, s40, s1
	s_delay_alu instid0(SALU_CYCLE_1)
	s_sub_i32 s5, s1, s38
	s_cmp_ge_u32 s1, s38
	s_cselect_b32 s0, s4, s0
	s_cselect_b32 s1, s5, s1
	s_add_i32 s4, s0, 1
	s_cmp_ge_u32 s1, s38
	s_mov_b32 s1, 0
	s_cselect_b32 s0, s4, s0
	s_delay_alu instid0(SALU_CYCLE_1)
	v_dual_mov_b32 v34, s1 :: v_dual_mov_b32 v33, s0
.LBB21_254:
	v_lshlrev_b32_e32 v52, 3, v0
	s_waitcnt lgkmcnt(0)
	ds_store_b64 v52, v[7:8] offset:33792
	s_waitcnt lgkmcnt(0)
	s_barrier
	buffer_gl0_inv
	s_and_saveexec_b32 s0, s3
	s_cbranch_execz .LBB21_256
; %bb.255:
	ds_load_b64 v[33:34], v52 offset:33784
.LBB21_256:
	s_or_b32 exec_lo, exec_lo, s0
	v_lshlrev_b32_e32 v52, 2, v0
	s_waitcnt lgkmcnt(0)
	s_barrier
	buffer_gl0_inv
	v_lshlrev_b32_e32 v69, 2, v38
	v_add_co_u32 v52, s0, s33, v52
	s_delay_alu instid0(VALU_DEP_1) | instskip(SKIP_1) | instid1(VALU_DEP_3)
	v_add_co_ci_u32_e64 v53, null, s50, 0, s0
	v_cmp_ne_u64_e64 s0, v[5:6], v[7:8]
	v_add_co_u32 v54, vcc_lo, 0x1000, v52
	s_delay_alu instid0(VALU_DEP_3)
	v_add_co_ci_u32_e32 v55, vcc_lo, 0, v53, vcc_lo
	s_clause 0x7
	flat_load_b32 v56, v[52:53]
	flat_load_b32 v57, v[52:53] offset:1024
	flat_load_b32 v58, v[52:53] offset:2048
	;; [unrolled: 1-line block ×3, first 2 shown]
	flat_load_b32 v60, v[54:55]
	flat_load_b32 v61, v[54:55] offset:1024
	flat_load_b32 v62, v[54:55] offset:2048
	;; [unrolled: 1-line block ×3, first 2 shown]
	v_add_co_u32 v54, vcc_lo, 0x2000, v52
	v_add_co_ci_u32_e32 v55, vcc_lo, 0, v53, vcc_lo
	v_add_co_u32 v52, vcc_lo, 0x3000, v52
	v_add_co_ci_u32_e32 v53, vcc_lo, 0, v53, vcc_lo
	s_clause 0x7
	flat_load_b32 v64, v[54:55]
	flat_load_b32 v65, v[54:55] offset:1024
	flat_load_b32 v66, v[54:55] offset:2048
	;; [unrolled: 1-line block ×3, first 2 shown]
	flat_load_b32 v55, v[52:53]
	flat_load_b32 v67, v[52:53] offset:1024
	flat_load_b32 v68, v[52:53] offset:2048
	;; [unrolled: 1-line block ×3, first 2 shown]
	v_cmp_ne_u64_e32 vcc_lo, v[33:34], v[29:30]
	v_lshlrev_b32_e32 v8, 2, v36
	v_lshlrev_b32_e32 v7, 2, v35
	v_lshlrev_b32_e32 v35, 2, v40
	v_lshlrev_b32_e32 v71, 2, v42
	v_lshlrev_b32_e32 v70, 2, v44
	v_cndmask_b32_e64 v36, 0, 1, vcc_lo
	v_cmp_ne_u64_e32 vcc_lo, v[29:30], v[31:32]
	v_lshlrev_b32_e32 v72, 2, v46
	v_lshlrev_b32_e32 v73, 2, v48
	v_lshlrev_b32_e32 v74, 2, v50
	v_lshlrev_b32_e32 v37, 2, v37
	v_lshlrev_b32_e32 v39, 2, v39
	v_cndmask_b32_e64 v38, 0, 1, vcc_lo
	;; [unrolled: 7-line block ×3, first 2 shown]
	v_cmp_ne_u64_e32 vcc_lo, v[25:26], v[27:28]
	v_lshlrev_b32_e32 v51, 2, v51
	s_mov_b32 s1, -1
                                        ; implicit-def: $sgpr4_sgpr5
	s_waitcnt vmcnt(15) lgkmcnt(15)
	ds_store_b32 v7, v56
	s_waitcnt vmcnt(14) lgkmcnt(15)
	ds_store_b32 v8, v57 offset:1024
	s_waitcnt vmcnt(13) lgkmcnt(15)
	ds_store_b32 v35, v58 offset:2048
	;; [unrolled: 2-line block ×15, first 2 shown]
	v_cndmask_b32_e64 v42, 0, 1, vcc_lo
	v_cmp_ne_u64_e32 vcc_lo, v[27:28], v[21:22]
	s_waitcnt lgkmcnt(0)
	s_barrier
	buffer_gl0_inv
	v_cndmask_b32_e64 v44, 0, 1, vcc_lo
	v_cmp_ne_u64_e32 vcc_lo, v[21:22], v[23:24]
	v_cndmask_b32_e64 v46, 0, 1, vcc_lo
	v_cmp_ne_u64_e32 vcc_lo, v[23:24], v[17:18]
	v_cndmask_b32_e64 v48, 0, 1, vcc_lo
	v_cmp_ne_u64_e32 vcc_lo, v[17:18], v[19:20]
	ds_load_2addr_b32 v[7:8], v74 offset1:1
	ds_load_2addr_b32 v[17:18], v74 offset0:2 offset1:3
	v_cndmask_b32_e64 v50, 0, 1, vcc_lo
	v_cmp_ne_u64_e32 vcc_lo, v[19:20], v[13:14]
	v_cndmask_b32_e64 v52, 0, 1, vcc_lo
	v_cmp_ne_u64_e32 vcc_lo, v[13:14], v[15:16]
	ds_load_2addr_b32 v[13:14], v74 offset0:4 offset1:5
	ds_load_2addr_b32 v[19:20], v74 offset0:6 offset1:7
	v_cndmask_b32_e64 v54, 0, 1, vcc_lo
	v_cmp_ne_u64_e32 vcc_lo, v[15:16], v[9:10]
	s_waitcnt lgkmcnt(3)
	v_mov_b32_e32 v35, v7
	v_mov_b32_e32 v37, v8
	s_waitcnt lgkmcnt(2)
	v_mov_b32_e32 v39, v17
	v_mov_b32_e32 v41, v18
	v_cndmask_b32_e64 v56, 0, 1, vcc_lo
	v_cmp_ne_u64_e32 vcc_lo, v[9:10], v[11:12]
	s_waitcnt lgkmcnt(1)
	v_mov_b32_e32 v43, v13
	ds_load_2addr_b32 v[15:16], v74 offset0:8 offset1:9
	ds_load_2addr_b32 v[21:22], v74 offset0:10 offset1:11
	;; [unrolled: 1-line block ×4, first 2 shown]
	v_cndmask_b32_e64 v58, 0, 1, vcc_lo
	v_cmp_ne_u64_e32 vcc_lo, v[11:12], v[1:2]
	v_mov_b32_e32 v45, v14
	s_waitcnt lgkmcnt(4)
	v_mov_b32_e32 v47, v19
	v_mov_b32_e32 v49, v20
	v_cndmask_b32_e64 v60, 0, 1, vcc_lo
	v_cmp_ne_u64_e32 vcc_lo, v[1:2], v[3:4]
	v_cndmask_b32_e64 v62, 0, 1, vcc_lo
	v_cmp_ne_u64_e32 vcc_lo, v[3:4], v[5:6]
	s_waitcnt lgkmcnt(3)
	v_mov_b32_e32 v51, v15
	v_mov_b32_e32 v53, v16
	s_waitcnt lgkmcnt(2)
	v_mov_b32_e32 v55, v21
	v_mov_b32_e32 v57, v22
	v_cndmask_b32_e64 v64, 0, 1, vcc_lo
	s_waitcnt lgkmcnt(1)
	v_mov_b32_e32 v59, v9
	v_mov_b32_e32 v61, v10
	s_waitcnt lgkmcnt(0)
	v_mov_b32_e32 v63, v65
.LBB21_257:
	v_dual_mov_b32 v7, s5 :: v_dual_mov_b32 v6, s4
	s_and_saveexec_b32 s4, s1
	s_cbranch_execz .LBB21_259
; %bb.258:
	v_cndmask_b32_e64 v7, 0, 1, s0
	s_waitcnt lgkmcnt(0)
	v_mov_b32_e32 v6, v66
.LBB21_259:
	s_or_b32 exec_lo, exec_lo, s4
	s_delay_alu instid0(VALU_DEP_1)
	v_or3_b32 v13, v7, v64, v62
	v_lshrrev_b32_e32 v12, 5, v0
	v_cmp_gt_u32_e32 vcc_lo, 32, v0
	s_cmp_lg_u32 s31, 0
	s_mov_b32 s16, 0
	s_waitcnt lgkmcnt(0)
	s_barrier
	buffer_gl0_inv
	s_cbranch_scc0 .LBB21_296
; %bb.260:
	s_mov_b32 s17, 1
	v_or3_b32 v2, v13, v60, v58
	v_cmp_gt_u64_e64 s0, s[16:17], v[37:38]
	v_cmp_gt_u64_e64 s1, s[16:17], v[39:40]
	;; [unrolled: 1-line block ×6, first 2 shown]
	v_cndmask_b32_e64 v1, 0, v35, s0
	v_cmp_gt_u64_e64 s8, s[16:17], v[49:50]
	v_cmp_gt_u64_e64 s9, s[16:17], v[51:52]
	;; [unrolled: 1-line block ×4, first 2 shown]
	v_add_nc_u32_e32 v1, v1, v37
	v_cmp_gt_u64_e64 s12, s[16:17], v[57:58]
	v_cmp_gt_u64_e64 s13, s[16:17], v[59:60]
	v_or3_b32 v2, v2, v56, v54
	v_cmp_gt_u64_e64 s14, s[16:17], v[61:62]
	v_cndmask_b32_e64 v1, 0, v1, s1
	v_cmp_gt_u64_e64 s15, s[16:17], v[63:64]
	v_cmp_gt_u64_e64 s16, s[16:17], v[6:7]
	v_or3_b32 v2, v2, v52, v50
	v_add_lshl_u32 v3, v12, v0, 3
	v_add_nc_u32_e32 v1, v1, v39
	s_delay_alu instid0(VALU_DEP_3) | instskip(NEXT) | instid1(VALU_DEP_2)
	v_or3_b32 v2, v2, v48, v46
	v_cndmask_b32_e64 v1, 0, v1, s4
	s_delay_alu instid0(VALU_DEP_2) | instskip(NEXT) | instid1(VALU_DEP_2)
	v_or3_b32 v2, v2, v44, v42
	v_add_nc_u32_e32 v1, v1, v41
	s_delay_alu instid0(VALU_DEP_2) | instskip(NEXT) | instid1(VALU_DEP_2)
	v_or3_b32 v2, v2, v40, v38
	v_cndmask_b32_e64 v1, 0, v1, s5
	s_delay_alu instid0(VALU_DEP_2) | instskip(NEXT) | instid1(VALU_DEP_2)
	v_and_b32_e32 v2, 1, v2
	v_add_nc_u32_e32 v1, v1, v43
	s_delay_alu instid0(VALU_DEP_2) | instskip(NEXT) | instid1(VALU_DEP_2)
	v_cmp_eq_u32_e64 s17, 1, v2
	v_cndmask_b32_e64 v1, 0, v1, s6
	s_delay_alu instid0(VALU_DEP_2) | instskip(NEXT) | instid1(VALU_DEP_2)
	v_cndmask_b32_e64 v15, v36, 1, s17
	v_add_nc_u32_e32 v1, v1, v45
	s_delay_alu instid0(VALU_DEP_1) | instskip(NEXT) | instid1(VALU_DEP_1)
	v_cndmask_b32_e64 v1, 0, v1, s7
	v_add_nc_u32_e32 v1, v1, v47
	s_delay_alu instid0(VALU_DEP_1) | instskip(NEXT) | instid1(VALU_DEP_1)
	;; [unrolled: 3-line block ×10, first 2 shown]
	v_cndmask_b32_e64 v1, 0, v1, s16
	v_add_nc_u32_e32 v14, v1, v6
	ds_store_b32 v3, v14
	ds_store_b8 v3, v15 offset:4
	s_waitcnt lgkmcnt(0)
	s_barrier
	buffer_gl0_inv
	s_and_saveexec_b32 s18, vcc_lo
	s_cbranch_execz .LBB21_270
; %bb.261:
	v_lshlrev_b32_e32 v1, 1, v0
	s_mov_b32 s19, exec_lo
	s_delay_alu instid0(VALU_DEP_1) | instskip(NEXT) | instid1(VALU_DEP_1)
	v_and_b32_e32 v1, 0x1f8, v1
	v_lshl_or_b32 v3, v0, 6, v1
	ds_load_u8 v10, v3 offset:12
	ds_load_b64 v[1:2], v3
	ds_load_u8 v11, v3 offset:20
	ds_load_2addr_b32 v[4:5], v3 offset0:2 offset1:4
	ds_load_u8 v16, v3 offset:28
	ds_load_u8 v17, v3 offset:36
	;; [unrolled: 1-line block ×4, first 2 shown]
	ds_load_b32 v20, v3 offset:56
	ds_load_u8 v21, v3 offset:60
	s_waitcnt lgkmcnt(9)
	v_and_b32_e32 v8, 0xff, v10
	s_waitcnt lgkmcnt(7)
	v_and_b32_e32 v23, 0xff, v11
	s_delay_alu instid0(VALU_DEP_2)
	v_cmp_eq_u16_e64 s17, 0, v8
	ds_load_2addr_b32 v[8:9], v3 offset0:6 offset1:8
	s_waitcnt lgkmcnt(5)
	v_and_b32_e32 v24, 0xff, v17
	v_cndmask_b32_e64 v22, 0, v1, s17
	v_cmp_eq_u16_e64 s17, 0, v23
	s_delay_alu instid0(VALU_DEP_2) | instskip(SKIP_1) | instid1(VALU_DEP_2)
	v_add_nc_u32_e32 v4, v22, v4
	v_and_b32_e32 v22, 0xff, v16
	v_cndmask_b32_e64 v4, 0, v4, s17
	s_delay_alu instid0(VALU_DEP_2) | instskip(NEXT) | instid1(VALU_DEP_2)
	v_cmp_eq_u16_e64 s17, 0, v22
	v_add_nc_u32_e32 v4, v4, v5
	s_waitcnt lgkmcnt(1)
	v_or_b32_e32 v5, v21, v19
	s_delay_alu instid0(VALU_DEP_2) | instskip(NEXT) | instid1(VALU_DEP_2)
	v_cndmask_b32_e64 v22, 0, v4, s17
	v_or_b32_e32 v23, v5, v18
	ds_load_2addr_b32 v[4:5], v3 offset0:10 offset1:12
	v_cmp_eq_u16_e64 s17, 0, v24
	s_waitcnt lgkmcnt(1)
	v_add_nc_u32_e32 v8, v22, v8
	v_or_b32_e32 v17, v23, v17
	s_delay_alu instid0(VALU_DEP_2) | instskip(NEXT) | instid1(VALU_DEP_2)
	v_cndmask_b32_e64 v8, 0, v8, s17
	v_or_b32_e32 v16, v17, v16
	v_and_b32_e32 v17, 0xff, v18
	s_delay_alu instid0(VALU_DEP_3) | instskip(NEXT) | instid1(VALU_DEP_3)
	v_add_nc_u32_e32 v8, v8, v9
	v_or_b32_e32 v9, v16, v11
	s_delay_alu instid0(VALU_DEP_3) | instskip(NEXT) | instid1(VALU_DEP_2)
	v_cmp_eq_u16_e64 s17, 0, v17
	v_or_b32_e32 v9, v9, v10
	s_delay_alu instid0(VALU_DEP_2) | instskip(SKIP_1) | instid1(VALU_DEP_3)
	v_cndmask_b32_e64 v8, 0, v8, s17
	v_and_b32_e32 v10, 0xff, v19
	v_and_b32_e32 v9, 1, v9
	s_waitcnt lgkmcnt(0)
	s_delay_alu instid0(VALU_DEP_3) | instskip(NEXT) | instid1(VALU_DEP_3)
	v_add_nc_u32_e32 v8, v8, v4
	v_cmp_eq_u16_e64 s17, 0, v10
	v_and_b32_e32 v4, 1, v2
	s_delay_alu instid0(VALU_DEP_2) | instskip(SKIP_2) | instid1(VALU_DEP_3)
	v_cndmask_b32_e64 v8, 0, v8, s17
	v_cmp_eq_u32_e64 s17, 1, v9
	v_mbcnt_lo_u32_b32 v9, -1, 0
	v_add_nc_u32_e32 v8, v8, v5
	s_delay_alu instid0(VALU_DEP_3) | instskip(SKIP_2) | instid1(VALU_DEP_3)
	v_cndmask_b32_e64 v10, v4, 1, s17
	v_cmp_eq_u16_e64 s17, 0, v21
	v_and_b32_e32 v5, 0xffffff00, v2
	v_and_b32_e32 v11, 0xffff, v10
	s_delay_alu instid0(VALU_DEP_3) | instskip(NEXT) | instid1(VALU_DEP_2)
	v_cndmask_b32_e64 v8, 0, v8, s17
	v_or_b32_e32 v16, v5, v11
	s_delay_alu instid0(VALU_DEP_2) | instskip(SKIP_1) | instid1(VALU_DEP_3)
	v_add_nc_u32_e32 v8, v8, v20
	v_and_b32_e32 v11, 15, v9
	v_mov_b32_dpp v18, v16 row_shr:1 row_mask:0xf bank_mask:0xf
	s_delay_alu instid0(VALU_DEP_3) | instskip(NEXT) | instid1(VALU_DEP_3)
	v_mov_b32_dpp v17, v8 row_shr:1 row_mask:0xf bank_mask:0xf
	v_cmpx_ne_u32_e32 0, v11
; %bb.262:
	v_and_b32_e32 v16, 1, v10
	s_delay_alu instid0(VALU_DEP_4) | instskip(NEXT) | instid1(VALU_DEP_2)
	v_and_b32_e32 v18, 1, v18
	v_cmp_eq_u32_e64 s17, 1, v16
	s_delay_alu instid0(VALU_DEP_1) | instskip(SKIP_1) | instid1(VALU_DEP_2)
	v_cndmask_b32_e64 v18, v18, 1, s17
	v_cmp_eq_u16_e64 s17, 0, v10
	v_and_b32_e32 v16, 0xffff, v18
	s_delay_alu instid0(VALU_DEP_2) | instskip(NEXT) | instid1(VALU_DEP_2)
	v_cndmask_b32_e64 v10, 0, v17, s17
	v_or_b32_e32 v16, v5, v16
	s_delay_alu instid0(VALU_DEP_2)
	v_add_nc_u32_e32 v8, v10, v8
	v_mov_b32_e32 v10, v18
; %bb.263:
	s_or_b32 exec_lo, exec_lo, s19
	s_delay_alu instid0(VALU_DEP_2)
	v_mov_b32_dpp v17, v8 row_shr:2 row_mask:0xf bank_mask:0xf
	v_mov_b32_dpp v18, v16 row_shr:2 row_mask:0xf bank_mask:0xf
	s_mov_b32 s19, exec_lo
	v_cmpx_lt_u32_e32 1, v11
; %bb.264:
	v_and_b32_e32 v16, 1, v10
	s_delay_alu instid0(VALU_DEP_3) | instskip(NEXT) | instid1(VALU_DEP_2)
	v_and_b32_e32 v18, 1, v18
	v_cmp_eq_u32_e64 s17, 1, v16
	s_delay_alu instid0(VALU_DEP_1) | instskip(SKIP_1) | instid1(VALU_DEP_2)
	v_cndmask_b32_e64 v18, v18, 1, s17
	v_cmp_eq_u16_e64 s17, 0, v10
	v_and_b32_e32 v16, 0xffff, v18
	s_delay_alu instid0(VALU_DEP_2) | instskip(NEXT) | instid1(VALU_DEP_2)
	v_cndmask_b32_e64 v10, 0, v17, s17
	v_or_b32_e32 v16, v5, v16
	s_delay_alu instid0(VALU_DEP_2)
	v_add_nc_u32_e32 v8, v10, v8
	v_mov_b32_e32 v10, v18
; %bb.265:
	s_or_b32 exec_lo, exec_lo, s19
	s_delay_alu instid0(VALU_DEP_2)
	v_mov_b32_dpp v17, v8 row_shr:4 row_mask:0xf bank_mask:0xf
	v_mov_b32_dpp v18, v16 row_shr:4 row_mask:0xf bank_mask:0xf
	s_mov_b32 s19, exec_lo
	v_cmpx_lt_u32_e32 3, v11
; %bb.266:
	v_and_b32_e32 v16, 1, v10
	s_delay_alu instid0(VALU_DEP_3) | instskip(NEXT) | instid1(VALU_DEP_2)
	;; [unrolled: 22-line block ×3, first 2 shown]
	v_and_b32_e32 v16, 1, v18
	v_cmp_eq_u32_e64 s17, 1, v11
	s_delay_alu instid0(VALU_DEP_1) | instskip(SKIP_1) | instid1(VALU_DEP_2)
	v_cndmask_b32_e64 v11, v16, 1, s17
	v_cmp_eq_u16_e64 s17, 0, v10
	v_and_b32_e32 v16, 0xffff, v11
	s_delay_alu instid0(VALU_DEP_2) | instskip(NEXT) | instid1(VALU_DEP_2)
	v_cndmask_b32_e64 v10, 0, v17, s17
	v_or_b32_e32 v16, v5, v16
	s_delay_alu instid0(VALU_DEP_2)
	v_add_nc_u32_e32 v8, v10, v8
	v_mov_b32_e32 v10, v11
; %bb.269:
	s_or_b32 exec_lo, exec_lo, s19
	ds_swizzle_b32 v11, v16 offset:swizzle(BROADCAST,32,15)
	ds_swizzle_b32 v16, v8 offset:swizzle(BROADCAST,32,15)
	v_and_b32_e32 v17, 1, v10
	v_and_b32_e32 v18, 16, v9
	v_bfe_i32 v19, v9, 4, 1
	v_and_b32_e32 v2, 0xff, v2
	s_delay_alu instid0(VALU_DEP_4) | instskip(SKIP_3) | instid1(VALU_DEP_1)
	v_cmp_eq_u32_e64 s17, 1, v17
	v_add_nc_u32_e32 v17, -1, v9
	; wave barrier
	s_waitcnt lgkmcnt(1)
	v_and_b32_e32 v11, 1, v11
	v_cndmask_b32_e64 v11, v11, 1, s17
	v_cmp_eq_u16_e64 s17, 0, v10
	s_waitcnt lgkmcnt(0)
	s_delay_alu instid0(VALU_DEP_1) | instskip(SKIP_1) | instid1(VALU_DEP_1)
	v_cndmask_b32_e64 v16, 0, v16, s17
	v_cmp_eq_u32_e64 s17, 0, v18
	v_cndmask_b32_e64 v10, v11, v10, s17
	v_cmp_gt_i32_e64 s17, 0, v17
	s_delay_alu instid0(VALU_DEP_4) | instskip(NEXT) | instid1(VALU_DEP_3)
	v_and_b32_e32 v11, v19, v16
	v_and_b32_e32 v10, 0xffff, v10
	s_delay_alu instid0(VALU_DEP_3) | instskip(NEXT) | instid1(VALU_DEP_3)
	v_cndmask_b32_e64 v9, v17, v9, s17
	v_add_nc_u32_e32 v8, v11, v8
	v_cmp_eq_u16_e64 s17, 0, v2
	s_delay_alu instid0(VALU_DEP_4) | instskip(NEXT) | instid1(VALU_DEP_4)
	v_or_b32_e32 v5, v5, v10
	v_lshlrev_b32_e32 v9, 2, v9
	ds_bpermute_b32 v8, v9, v8
	ds_bpermute_b32 v5, v9, v5
	s_waitcnt lgkmcnt(1)
	v_cndmask_b32_e64 v2, 0, v8, s17
	s_waitcnt lgkmcnt(0)
	v_and_b32_e32 v5, 1, v5
	v_cmp_eq_u32_e64 s17, 1, v4
	s_delay_alu instid0(VALU_DEP_3) | instskip(NEXT) | instid1(VALU_DEP_2)
	v_add_nc_u32_e32 v1, v2, v1
	v_cndmask_b32_e64 v2, v5, 1, s17
	s_delay_alu instid0(VALU_DEP_2) | instskip(NEXT) | instid1(VALU_DEP_2)
	v_cndmask_b32_e64 v4, v1, v14, s2
	v_cndmask_b32_e64 v8, v2, v15, s2
	ds_store_b32 v3, v4
	ds_store_b8 v3, v8 offset:4
	; wave barrier
	ds_load_u8 v9, v3 offset:12
	ds_load_2addr_b32 v[1:2], v3 offset0:2 offset1:4
	ds_load_u8 v10, v3 offset:20
	ds_load_u8 v11, v3 offset:28
	;; [unrolled: 1-line block ×5, first 2 shown]
	ds_load_b32 v19, v3 offset:56
	ds_load_u8 v20, v3 offset:60
	s_waitcnt lgkmcnt(8)
	v_cmp_eq_u16_e64 s17, 0, v9
	v_and_b32_e32 v9, 1, v9
	s_delay_alu instid0(VALU_DEP_2)
	v_cndmask_b32_e64 v21, 0, v4, s17
	ds_load_2addr_b32 v[4:5], v3 offset0:6 offset1:8
	s_waitcnt lgkmcnt(7)
	v_cmp_eq_u16_e64 s17, 0, v10
	v_and_b32_e32 v10, 1, v10
	v_add_nc_u32_e32 v21, v21, v1
	s_delay_alu instid0(VALU_DEP_1) | instskip(SKIP_2) | instid1(VALU_DEP_2)
	v_cndmask_b32_e64 v1, 0, v21, s17
	s_waitcnt lgkmcnt(6)
	v_cmp_eq_u16_e64 s17, 0, v11
	v_add_nc_u32_e32 v22, v1, v2
	ds_load_2addr_b32 v[1:2], v3 offset0:10 offset1:12
	v_cndmask_b32_e64 v23, 0, v22, s17
	s_waitcnt lgkmcnt(6)
	v_cmp_eq_u16_e64 s17, 0, v16
	ds_store_2addr_b32 v3, v21, v22 offset0:2 offset1:4
	s_waitcnt lgkmcnt(2)
	v_add_nc_u32_e32 v4, v23, v4
	s_delay_alu instid0(VALU_DEP_1) | instskip(SKIP_3) | instid1(VALU_DEP_4)
	v_cndmask_b32_e64 v23, 0, v4, s17
	v_cmp_eq_u32_e64 s17, 1, v9
	v_and_b32_e32 v9, 1, v11
	v_and_b32_e32 v11, 1, v16
	v_add_nc_u32_e32 v5, v23, v5
	s_delay_alu instid0(VALU_DEP_4) | instskip(SKIP_2) | instid1(VALU_DEP_2)
	v_cndmask_b32_e64 v8, v8, 1, s17
	v_cmp_eq_u32_e64 s17, 1, v10
	v_and_b32_e32 v23, 1, v20
	v_cndmask_b32_e64 v10, v8, 1, s17
	v_cmp_eq_u16_e64 s17, 0, v17
	v_and_b32_e32 v17, 1, v17
	s_delay_alu instid0(VALU_DEP_2) | instskip(SKIP_2) | instid1(VALU_DEP_2)
	v_cndmask_b32_e64 v16, 0, v5, s17
	v_cmp_eq_u32_e64 s17, 1, v9
	s_waitcnt lgkmcnt(1)
	v_add_nc_u32_e32 v1, v16, v1
	s_delay_alu instid0(VALU_DEP_2) | instskip(SKIP_2) | instid1(VALU_DEP_2)
	v_cndmask_b32_e64 v9, v10, 1, s17
	v_cmp_eq_u32_e64 s17, 1, v11
	v_and_b32_e32 v16, 1, v18
	v_cndmask_b32_e64 v11, v9, 1, s17
	v_cmp_eq_u16_e64 s17, 0, v18
	s_delay_alu instid0(VALU_DEP_1) | instskip(SKIP_1) | instid1(VALU_DEP_2)
	v_cndmask_b32_e64 v18, 0, v1, s17
	v_cmp_eq_u32_e64 s17, 1, v17
	v_add_nc_u32_e32 v2, v18, v2
	s_delay_alu instid0(VALU_DEP_2)
	v_cndmask_b32_e64 v17, v11, 1, s17
	v_cmp_eq_u32_e64 s17, 1, v16
	ds_store_2addr_b32 v3, v4, v5 offset0:6 offset1:8
	ds_store_2addr_b32 v3, v1, v2 offset0:10 offset1:12
	v_cndmask_b32_e64 v16, v17, 1, s17
	v_cmp_eq_u16_e64 s17, 0, v20
	s_delay_alu instid0(VALU_DEP_1) | instskip(SKIP_1) | instid1(VALU_DEP_2)
	v_cndmask_b32_e64 v18, 0, v2, s17
	v_cmp_eq_u32_e64 s17, 1, v23
	v_add_nc_u32_e32 v1, v18, v19
	s_delay_alu instid0(VALU_DEP_2)
	v_cndmask_b32_e64 v20, v16, 1, s17
	ds_store_b8 v3, v8 offset:12
	ds_store_b8 v3, v10 offset:20
	;; [unrolled: 1-line block ×6, first 2 shown]
	ds_store_b32 v3, v1 offset:56
	ds_store_b8 v3, v20 offset:60
.LBB21_270:
	s_or_b32 exec_lo, exec_lo, s18
	s_waitcnt lgkmcnt(0)
	s_barrier
	buffer_gl0_inv
	s_and_saveexec_b32 s17, s3
	s_cbranch_execz .LBB21_272
; %bb.271:
	v_add_nc_u32_e32 v1, -1, v0
	s_delay_alu instid0(VALU_DEP_1) | instskip(NEXT) | instid1(VALU_DEP_1)
	v_lshrrev_b32_e32 v2, 5, v1
	v_add_lshl_u32 v1, v2, v1, 3
	ds_load_b32 v14, v1
	ds_load_u8 v15, v1 offset:4
.LBB21_272:
	s_or_b32 exec_lo, exec_lo, s17
	s_and_saveexec_b32 s33, vcc_lo
	s_cbranch_execz .LBB21_295
; %bb.273:
	v_mov_b32_e32 v4, 0
	v_mbcnt_lo_u32_b32 v16, -1, 0
	s_mov_b32 s19, 0
	ds_load_b64 v[1:2], v4 offset:2096
	v_cmp_eq_u32_e64 s17, 0, v16
	s_waitcnt lgkmcnt(0)
	v_readfirstlane_b32 s38, v2
	s_delay_alu instid0(VALU_DEP_2)
	s_and_saveexec_b32 s26, s17
	s_cbranch_execz .LBB21_275
; %bb.274:
	s_add_i32 s18, s31, 32
	s_mov_b32 s42, s19
	s_lshl_b64 s[40:41], s[18:19], 4
	s_mov_b32 s46, s19
	s_add_u32 s40, s28, s40
	s_addc_u32 s41, s29, s41
	s_and_b32 s43, s38, 0xff000000
	s_and_b32 s47, s38, 0xff0000
	v_dual_mov_b32 v8, s40 :: v_dual_mov_b32 v9, s41
	s_or_b64 s[42:43], s[46:47], s[42:43]
	s_and_b32 s47, s38, 0xff00
	v_mov_b32_e32 v3, 1
	s_or_b64 s[42:43], s[42:43], s[46:47]
	s_and_b32 s47, s38, 0xff
	s_delay_alu instid0(SALU_CYCLE_1) | instskip(NEXT) | instid1(SALU_CYCLE_1)
	s_or_b64 s[42:43], s[42:43], s[46:47]
	v_mov_b32_e32 v2, s43
	;;#ASMSTART
	global_store_dwordx4 v[8:9], v[1:4] off	
s_waitcnt vmcnt(0)
	;;#ASMEND
.LBB21_275:
	s_or_b32 exec_lo, exec_lo, s26
	v_xad_u32 v8, v16, -1, s31
	s_mov_b32 s18, exec_lo
	s_delay_alu instid0(VALU_DEP_1) | instskip(NEXT) | instid1(VALU_DEP_1)
	v_add_nc_u32_e32 v3, 32, v8
	v_lshlrev_b64 v[2:3], 4, v[3:4]
	s_delay_alu instid0(VALU_DEP_1) | instskip(NEXT) | instid1(VALU_DEP_2)
	v_add_co_u32 v9, vcc_lo, s28, v2
	v_add_co_ci_u32_e32 v10, vcc_lo, s29, v3, vcc_lo
	;;#ASMSTART
	global_load_dwordx4 v[2:5], v[9:10] off glc	
s_waitcnt vmcnt(0)
	;;#ASMEND
	v_and_b32_e32 v5, 0xffff, v2
	v_and_b32_e32 v11, 0xff0000, v2
	;; [unrolled: 1-line block ×4, first 2 shown]
	s_delay_alu instid0(VALU_DEP_3) | instskip(SKIP_1) | instid1(VALU_DEP_3)
	v_or_b32_e32 v5, v5, v11
	v_and_b32_e32 v11, 0xff, v4
	v_or3_b32 v3, 0, 0, v3
	s_delay_alu instid0(VALU_DEP_3) | instskip(NEXT) | instid1(VALU_DEP_3)
	v_or3_b32 v2, v5, v2, 0
	v_cmpx_eq_u16_e32 0, v11
	s_cbranch_execz .LBB21_281
; %bb.276:
	s_mov_b32 s26, 1
	.p2align	6
.LBB21_277:                             ; =>This Loop Header: Depth=1
                                        ;     Child Loop BB21_278 Depth 2
	s_delay_alu instid0(SALU_CYCLE_1)
	s_max_u32 s27, s26, 1
.LBB21_278:                             ;   Parent Loop BB21_277 Depth=1
                                        ; =>  This Inner Loop Header: Depth=2
	s_delay_alu instid0(SALU_CYCLE_1)
	s_add_i32 s27, s27, -1
	s_sleep 1
	s_cmp_eq_u32 s27, 0
	s_cbranch_scc0 .LBB21_278
; %bb.279:                              ;   in Loop: Header=BB21_277 Depth=1
	;;#ASMSTART
	global_load_dwordx4 v[2:5], v[9:10] off glc	
s_waitcnt vmcnt(0)
	;;#ASMEND
	v_and_b32_e32 v5, 0xff, v4
	s_cmp_lt_u32 s26, 32
	s_cselect_b32 s27, -1, 0
	s_delay_alu instid0(SALU_CYCLE_1) | instskip(NEXT) | instid1(VALU_DEP_1)
	s_cmp_lg_u32 s27, 0
	v_cmp_ne_u16_e32 vcc_lo, 0, v5
	s_addc_u32 s26, s26, 0
	s_or_b32 s19, vcc_lo, s19
	s_delay_alu instid0(SALU_CYCLE_1)
	s_and_not1_b32 exec_lo, exec_lo, s19
	s_cbranch_execnz .LBB21_277
; %bb.280:
	s_or_b32 exec_lo, exec_lo, s19
	v_and_b32_e32 v3, 0xff, v3
.LBB21_281:
	s_or_b32 exec_lo, exec_lo, s18
	v_cmp_ne_u32_e32 vcc_lo, 31, v16
	v_and_b32_e32 v9, 0xff, v4
	v_lshlrev_b32_e64 v18, v16, -1
	s_mov_b32 s26, 0
	s_mov_b32 s27, 1
	v_add_co_ci_u32_e32 v5, vcc_lo, 0, v16, vcc_lo
	v_cmp_eq_u16_e32 vcc_lo, 2, v9
	v_and_b32_e32 v9, 1, v3
	v_cmp_gt_u64_e64 s18, s[26:27], v[2:3]
	s_delay_alu instid0(VALU_DEP_4)
	v_lshlrev_b32_e32 v17, 2, v5
	v_add_nc_u32_e32 v28, 16, v16
	v_and_or_b32 v10, vcc_lo, v18, 0x80000000
	v_cmp_gt_u32_e32 vcc_lo, 30, v16
	ds_bpermute_b32 v5, v17, v3
	v_cndmask_b32_e64 v11, 0, 1, vcc_lo
	v_cmp_eq_u32_e32 vcc_lo, 1, v9
	v_ctz_i32_b32_e32 v9, v10
	s_waitcnt lgkmcnt(0)
	v_and_b32_e32 v5, 1, v5
	s_delay_alu instid0(VALU_DEP_1) | instskip(NEXT) | instid1(VALU_DEP_3)
	v_cndmask_b32_e64 v5, v5, 1, vcc_lo
	v_cmp_lt_u32_e32 vcc_lo, v16, v9
	v_lshlrev_b32_e32 v10, 1, v11
	s_delay_alu instid0(VALU_DEP_3) | instskip(SKIP_1) | instid1(VALU_DEP_3)
	v_and_b32_e32 v20, 0xffff, v5
	v_cndmask_b32_e32 v5, v3, v5, vcc_lo
	v_add_lshl_u32 v19, v10, v16, 2
	s_delay_alu instid0(VALU_DEP_3)
	v_cndmask_b32_e32 v10, v3, v20, vcc_lo
	ds_bpermute_b32 v11, v17, v2
	s_and_b32 vcc_lo, vcc_lo, s18
	v_and_b32_e32 v23, 0xff, v5
	ds_bpermute_b32 v20, v19, v10
	v_cmp_eq_u16_e64 s18, 0, v23
	s_waitcnt lgkmcnt(1)
	v_cndmask_b32_e32 v3, 0, v11, vcc_lo
	v_and_b32_e32 v11, 1, v5
	v_cmp_gt_u32_e32 vcc_lo, 28, v16
	s_waitcnt lgkmcnt(0)
	v_and_b32_e32 v20, 1, v20
	v_add_nc_u32_e32 v2, v3, v2
	v_cndmask_b32_e64 v21, 0, 1, vcc_lo
	v_cmp_eq_u32_e32 vcc_lo, 1, v11
	ds_bpermute_b32 v3, v19, v2
	v_lshlrev_b32_e32 v21, 2, v21
	v_cndmask_b32_e64 v11, v20, 1, vcc_lo
	v_add_nc_u32_e32 v20, 2, v16
	s_delay_alu instid0(VALU_DEP_3) | instskip(NEXT) | instid1(VALU_DEP_3)
	v_add_lshl_u32 v21, v21, v16, 2
	v_and_b32_e32 v22, 0xffff, v11
	s_delay_alu instid0(VALU_DEP_3) | instskip(NEXT) | instid1(VALU_DEP_2)
	v_cmp_gt_u32_e32 vcc_lo, v20, v9
	v_dual_cndmask_b32 v10, v22, v10 :: v_dual_cndmask_b32 v5, v11, v5
	v_add_nc_u32_e32 v22, 4, v16
	ds_bpermute_b32 v11, v21, v10
	s_waitcnt lgkmcnt(1)
	v_cndmask_b32_e64 v3, 0, v3, s18
	v_and_b32_e32 v23, 1, v5
	s_delay_alu instid0(VALU_DEP_2) | instskip(SKIP_1) | instid1(VALU_DEP_2)
	v_cndmask_b32_e64 v3, v3, 0, vcc_lo
	v_cmp_gt_u32_e32 vcc_lo, 24, v16
	v_add_nc_u32_e32 v2, v3, v2
	v_cndmask_b32_e64 v24, 0, 1, vcc_lo
	v_cmp_eq_u32_e32 vcc_lo, 1, v23
	v_and_b32_e32 v23, 0xff, v5
	ds_bpermute_b32 v3, v21, v2
	v_lshlrev_b32_e32 v24, 3, v24
	v_cmp_eq_u16_e64 s18, 0, v23
	s_waitcnt lgkmcnt(1)
	v_and_b32_e32 v11, 1, v11
	s_delay_alu instid0(VALU_DEP_3) | instskip(SKIP_1) | instid1(VALU_DEP_3)
	v_add_lshl_u32 v23, v24, v16, 2
	v_add_nc_u32_e32 v24, 8, v16
	v_cndmask_b32_e64 v11, v11, 1, vcc_lo
	v_cmp_gt_u32_e32 vcc_lo, v22, v9
	s_delay_alu instid0(VALU_DEP_2) | instskip(NEXT) | instid1(VALU_DEP_1)
	v_and_b32_e32 v25, 0xffff, v11
	v_dual_cndmask_b32 v5, v11, v5 :: v_dual_cndmask_b32 v10, v25, v10
	s_waitcnt lgkmcnt(0)
	v_cndmask_b32_e64 v3, 0, v3, s18
	s_delay_alu instid0(VALU_DEP_2) | instskip(SKIP_4) | instid1(VALU_DEP_2)
	v_and_b32_e32 v25, 1, v5
	v_and_b32_e32 v26, 0xff, v5
	ds_bpermute_b32 v11, v23, v10
	v_cndmask_b32_e64 v3, v3, 0, vcc_lo
	v_cmp_gt_u32_e32 vcc_lo, 16, v16
	v_add_nc_u32_e32 v2, v3, v2
	v_cndmask_b32_e64 v27, 0, 1, vcc_lo
	v_cmp_eq_u32_e32 vcc_lo, 1, v25
	ds_bpermute_b32 v3, v23, v2
	v_lshlrev_b32_e32 v25, 4, v27
	s_delay_alu instid0(VALU_DEP_1) | instskip(SKIP_2) | instid1(VALU_DEP_1)
	v_add_lshl_u32 v27, v25, v16, 2
	s_waitcnt lgkmcnt(1)
	v_and_b32_e32 v11, 1, v11
	v_cndmask_b32_e64 v11, v11, 1, vcc_lo
	v_cmp_eq_u16_e32 vcc_lo, 0, v26
	s_delay_alu instid0(VALU_DEP_2) | instskip(SKIP_3) | instid1(VALU_DEP_2)
	v_and_b32_e32 v26, 0xffff, v11
	s_waitcnt lgkmcnt(0)
	v_cndmask_b32_e32 v3, 0, v3, vcc_lo
	v_cmp_gt_u32_e32 vcc_lo, v24, v9
	v_cndmask_b32_e64 v3, v3, 0, vcc_lo
	v_dual_cndmask_b32 v10, v26, v10 :: v_dual_cndmask_b32 v5, v11, v5
	s_delay_alu instid0(VALU_DEP_2)
	v_add_nc_u32_e32 v2, v3, v2
	ds_bpermute_b32 v3, v27, v10
	v_and_b32_e32 v11, 0xff, v5
	v_and_b32_e32 v25, 1, v5
	ds_bpermute_b32 v10, v27, v2
	v_cmp_eq_u16_e32 vcc_lo, 0, v11
	s_waitcnt lgkmcnt(0)
	v_dual_cndmask_b32 v10, 0, v10 :: v_dual_and_b32 v3, 1, v3
	v_cmp_eq_u32_e32 vcc_lo, 1, v25
	s_delay_alu instid0(VALU_DEP_2) | instskip(SKIP_2) | instid1(VALU_DEP_3)
	v_cndmask_b32_e64 v3, v3, 1, vcc_lo
	v_cmp_gt_u32_e32 vcc_lo, v28, v9
	v_mov_b32_e32 v9, 0
	v_cndmask_b32_e32 v3, v3, v5, vcc_lo
	v_cndmask_b32_e64 v5, v10, 0, vcc_lo
	s_delay_alu instid0(VALU_DEP_1)
	v_add_nc_u32_e32 v2, v5, v2
	s_branch .LBB21_283
.LBB21_282:                             ;   in Loop: Header=BB21_283 Depth=1
	s_or_b32 exec_lo, exec_lo, s18
	ds_bpermute_b32 v5, v17, v3
	v_and_b32_e32 v10, 0xff, v4
	v_cmp_gt_u64_e64 s18, s[26:27], v[2:3]
	v_subrev_nc_u32_e32 v8, 32, v8
	s_delay_alu instid0(VALU_DEP_3) | instskip(SKIP_2) | instid1(VALU_DEP_2)
	v_cmp_eq_u16_e32 vcc_lo, 2, v10
	v_and_b32_e32 v10, 1, v3
	v_and_or_b32 v11, vcc_lo, v18, 0x80000000
	v_cmp_eq_u32_e32 vcc_lo, 1, v10
	s_delay_alu instid0(VALU_DEP_2) | instskip(SKIP_3) | instid1(VALU_DEP_1)
	v_ctz_i32_b32_e32 v10, v11
	ds_bpermute_b32 v11, v17, v2
	s_waitcnt lgkmcnt(1)
	v_and_b32_e32 v5, 1, v5
	v_cndmask_b32_e64 v5, v5, 1, vcc_lo
	v_cmp_lt_u32_e32 vcc_lo, v16, v10
	s_delay_alu instid0(VALU_DEP_2) | instskip(SKIP_1) | instid1(VALU_DEP_2)
	v_and_b32_e32 v29, 0xffff, v5
	v_cndmask_b32_e32 v5, v3, v5, vcc_lo
	v_cndmask_b32_e32 v29, v3, v29, vcc_lo
	s_and_b32 vcc_lo, vcc_lo, s18
	s_delay_alu instid0(VALU_DEP_2)
	v_and_b32_e32 v31, 0xff, v5
	ds_bpermute_b32 v30, v19, v29
	s_waitcnt lgkmcnt(1)
	v_cndmask_b32_e32 v3, 0, v11, vcc_lo
	v_and_b32_e32 v11, 1, v5
	v_cmp_eq_u16_e64 s18, 0, v31
	s_delay_alu instid0(VALU_DEP_2) | instskip(SKIP_2) | instid1(VALU_DEP_1)
	v_cmp_eq_u32_e32 vcc_lo, 1, v11
	s_waitcnt lgkmcnt(0)
	v_and_b32_e32 v30, 1, v30
	v_cndmask_b32_e64 v11, v30, 1, vcc_lo
	v_cmp_gt_u32_e32 vcc_lo, v20, v10
	s_delay_alu instid0(VALU_DEP_2) | instskip(NEXT) | instid1(VALU_DEP_1)
	v_dual_cndmask_b32 v5, v11, v5 :: v_dual_and_b32 v30, 0xffff, v11
	v_dual_cndmask_b32 v11, v30, v29 :: v_dual_add_nc_u32 v2, v3, v2
	s_delay_alu instid0(VALU_DEP_2)
	v_and_b32_e32 v30, 1, v5
	ds_bpermute_b32 v3, v19, v2
	ds_bpermute_b32 v29, v21, v11
	s_waitcnt lgkmcnt(1)
	v_cndmask_b32_e64 v3, 0, v3, s18
	s_waitcnt lgkmcnt(0)
	v_and_b32_e32 v29, 1, v29
	s_delay_alu instid0(VALU_DEP_2) | instskip(SKIP_2) | instid1(VALU_DEP_4)
	v_cndmask_b32_e64 v3, v3, 0, vcc_lo
	v_cmp_eq_u32_e32 vcc_lo, 1, v30
	v_and_b32_e32 v30, 0xff, v5
	v_cndmask_b32_e64 v29, v29, 1, vcc_lo
	v_cmp_gt_u32_e32 vcc_lo, v22, v10
	v_add_nc_u32_e32 v2, v3, v2
	s_delay_alu instid0(VALU_DEP_4) | instskip(NEXT) | instid1(VALU_DEP_4)
	v_cmp_eq_u16_e64 s18, 0, v30
	v_and_b32_e32 v31, 0xffff, v29
	v_cndmask_b32_e32 v5, v29, v5, vcc_lo
	ds_bpermute_b32 v3, v21, v2
	v_dual_cndmask_b32 v11, v31, v11 :: v_dual_and_b32 v30, 1, v5
	v_and_b32_e32 v31, 0xff, v5
	ds_bpermute_b32 v29, v23, v11
	s_waitcnt lgkmcnt(1)
	v_cndmask_b32_e64 v3, 0, v3, s18
	s_delay_alu instid0(VALU_DEP_1) | instskip(SKIP_3) | instid1(VALU_DEP_1)
	v_cndmask_b32_e64 v3, v3, 0, vcc_lo
	v_cmp_eq_u32_e32 vcc_lo, 1, v30
	s_waitcnt lgkmcnt(0)
	v_and_b32_e32 v29, 1, v29
	v_cndmask_b32_e64 v29, v29, 1, vcc_lo
	v_add_nc_u32_e32 v2, v3, v2
	v_cmp_eq_u16_e32 vcc_lo, 0, v31
	s_delay_alu instid0(VALU_DEP_3)
	v_and_b32_e32 v30, 0xffff, v29
	ds_bpermute_b32 v3, v23, v2
	s_waitcnt lgkmcnt(0)
	v_cndmask_b32_e32 v3, 0, v3, vcc_lo
	v_cmp_gt_u32_e32 vcc_lo, v24, v10
	v_cndmask_b32_e32 v5, v29, v5, vcc_lo
	s_delay_alu instid0(VALU_DEP_3) | instskip(SKIP_1) | instid1(VALU_DEP_3)
	v_cndmask_b32_e64 v3, v3, 0, vcc_lo
	v_cndmask_b32_e32 v11, v30, v11, vcc_lo
	v_and_b32_e32 v29, 1, v5
	s_delay_alu instid0(VALU_DEP_3)
	v_add_nc_u32_e32 v2, v3, v2
	ds_bpermute_b32 v3, v27, v11
	v_and_b32_e32 v30, 0xff, v5
	v_cmp_eq_u32_e32 vcc_lo, 1, v29
	ds_bpermute_b32 v11, v27, v2
	s_waitcnt lgkmcnt(1)
	v_cndmask_b32_e64 v3, v3, 1, vcc_lo
	v_cmp_eq_u16_e32 vcc_lo, 0, v30
	s_waitcnt lgkmcnt(0)
	v_cndmask_b32_e32 v11, 0, v11, vcc_lo
	v_cmp_gt_u32_e32 vcc_lo, v28, v10
	v_and_b32_e32 v10, 0xff, v25
	v_cndmask_b32_e32 v3, v3, v5, vcc_lo
	s_delay_alu instid0(VALU_DEP_4) | instskip(NEXT) | instid1(VALU_DEP_3)
	v_cndmask_b32_e64 v5, v11, 0, vcc_lo
	v_cmp_eq_u16_e32 vcc_lo, 0, v10
	s_delay_alu instid0(VALU_DEP_2) | instskip(SKIP_1) | instid1(VALU_DEP_2)
	v_add_nc_u32_e32 v2, v5, v2
	v_and_b32_e32 v5, 1, v25
	v_dual_cndmask_b32 v2, 0, v2 :: v_dual_and_b32 v3, 1, v3
	s_delay_alu instid0(VALU_DEP_2) | instskip(NEXT) | instid1(VALU_DEP_2)
	v_cmp_eq_u32_e32 vcc_lo, 1, v5
	v_add_nc_u32_e32 v2, v2, v26
	s_delay_alu instid0(VALU_DEP_3)
	v_cndmask_b32_e64 v3, v3, 1, vcc_lo
.LBB21_283:                             ; =>This Loop Header: Depth=1
                                        ;     Child Loop BB21_286 Depth 2
                                        ;       Child Loop BB21_287 Depth 3
	s_delay_alu instid0(VALU_DEP_1) | instskip(NEXT) | instid1(VALU_DEP_2)
	v_dual_mov_b32 v25, v3 :: v_dual_and_b32 v4, 0xff, v4
	v_mov_b32_e32 v26, v2
	s_delay_alu instid0(VALU_DEP_2) | instskip(SKIP_2) | instid1(VALU_DEP_1)
	v_cmp_ne_u16_e32 vcc_lo, 2, v4
	v_cndmask_b32_e64 v4, 0, 1, vcc_lo
	;;#ASMSTART
	;;#ASMEND
	v_cmp_ne_u32_e32 vcc_lo, 0, v4
	s_cmp_lg_u32 vcc_lo, exec_lo
	s_cbranch_scc1 .LBB21_290
; %bb.284:                              ;   in Loop: Header=BB21_283 Depth=1
	v_lshlrev_b64 v[2:3], 4, v[8:9]
	s_mov_b32 s18, exec_lo
	s_delay_alu instid0(VALU_DEP_1) | instskip(NEXT) | instid1(VALU_DEP_2)
	v_add_co_u32 v10, vcc_lo, s28, v2
	v_add_co_ci_u32_e32 v11, vcc_lo, s29, v3, vcc_lo
	;;#ASMSTART
	global_load_dwordx4 v[2:5], v[10:11] off glc	
s_waitcnt vmcnt(0)
	;;#ASMEND
	v_and_b32_e32 v5, 0xffff, v2
	v_and_b32_e32 v29, 0xff0000, v2
	;; [unrolled: 1-line block ×4, first 2 shown]
	s_delay_alu instid0(VALU_DEP_3) | instskip(SKIP_1) | instid1(VALU_DEP_3)
	v_or_b32_e32 v5, v5, v29
	v_and_b32_e32 v29, 0xff, v4
	v_or3_b32 v3, 0, 0, v3
	s_delay_alu instid0(VALU_DEP_3) | instskip(NEXT) | instid1(VALU_DEP_3)
	v_or3_b32 v2, v5, v2, 0
	v_cmpx_eq_u16_e32 0, v29
	s_cbranch_execz .LBB21_282
; %bb.285:                              ;   in Loop: Header=BB21_283 Depth=1
	s_mov_b32 s39, 1
	s_mov_b32 s19, 0
	.p2align	6
.LBB21_286:                             ;   Parent Loop BB21_283 Depth=1
                                        ; =>  This Loop Header: Depth=2
                                        ;       Child Loop BB21_287 Depth 3
	s_max_u32 s40, s39, 1
.LBB21_287:                             ;   Parent Loop BB21_283 Depth=1
                                        ;     Parent Loop BB21_286 Depth=2
                                        ; =>    This Inner Loop Header: Depth=3
	s_delay_alu instid0(SALU_CYCLE_1)
	s_add_i32 s40, s40, -1
	s_sleep 1
	s_cmp_eq_u32 s40, 0
	s_cbranch_scc0 .LBB21_287
; %bb.288:                              ;   in Loop: Header=BB21_286 Depth=2
	;;#ASMSTART
	global_load_dwordx4 v[2:5], v[10:11] off glc	
s_waitcnt vmcnt(0)
	;;#ASMEND
	v_and_b32_e32 v5, 0xff, v4
	s_cmp_lt_u32 s39, 32
	s_cselect_b32 s40, -1, 0
	s_delay_alu instid0(SALU_CYCLE_1) | instskip(NEXT) | instid1(VALU_DEP_1)
	s_cmp_lg_u32 s40, 0
	v_cmp_ne_u16_e32 vcc_lo, 0, v5
	s_addc_u32 s39, s39, 0
	s_or_b32 s19, vcc_lo, s19
	s_delay_alu instid0(SALU_CYCLE_1)
	s_and_not1_b32 exec_lo, exec_lo, s19
	s_cbranch_execnz .LBB21_286
; %bb.289:                              ;   in Loop: Header=BB21_283 Depth=1
	s_or_b32 exec_lo, exec_lo, s19
	v_and_b32_e32 v3, 0xff, v3
	s_branch .LBB21_282
.LBB21_290:                             ;   in Loop: Header=BB21_283 Depth=1
                                        ; implicit-def: $vgpr3
                                        ; implicit-def: $vgpr2
                                        ; implicit-def: $vgpr4
	s_cbranch_execz .LBB21_283
; %bb.291:
	s_and_saveexec_b32 s18, s17
	s_cbranch_execz .LBB21_293
; %bb.292:
	s_and_b32 s17, s38, 0xff
	s_mov_b32 s27, 0
	s_cmp_eq_u32 s17, 0
	v_and_b32_e32 v3, 1, v25
	s_cselect_b32 vcc_lo, -1, 0
	s_bitcmp1_b32 s38, 0
	v_cndmask_b32_e32 v2, 0, v26, vcc_lo
	s_cselect_b32 s17, -1, 0
	s_add_i32 s26, s31, 32
	v_mov_b32_e32 v4, 0
	s_lshl_b64 s[26:27], s[26:27], 4
	v_add_nc_u32_e32 v1, v2, v1
	s_add_u32 s26, s28, s26
	s_addc_u32 s27, s29, s27
	v_cndmask_b32_e64 v2, v3, 1, s17
	v_dual_mov_b32 v3, 2 :: v_dual_mov_b32 v8, s26
	v_mov_b32_e32 v9, s27
	;;#ASMSTART
	global_store_dwordx4 v[8:9], v[1:4] off	
s_waitcnt vmcnt(0)
	;;#ASMEND
.LBB21_293:
	s_or_b32 exec_lo, exec_lo, s18
	s_delay_alu instid0(SALU_CYCLE_1)
	s_and_b32 exec_lo, exec_lo, s2
	s_cbranch_execz .LBB21_295
; %bb.294:
	v_mov_b32_e32 v1, 0
	ds_store_b32 v1, v26
	ds_store_b8 v1, v25 offset:4
.LBB21_295:
	s_or_b32 exec_lo, exec_lo, s33
	v_dual_mov_b32 v1, 0 :: v_dual_and_b32 v2, 1, v36
	s_waitcnt lgkmcnt(0)
	v_and_b32_e32 v3, 1, v15
	s_barrier
	buffer_gl0_inv
	v_cmp_eq_u32_e32 vcc_lo, 1, v2
	ds_load_b32 v1, v1
	s_mov_b32 s19, 1
	s_mov_b32 s18, 0
	v_cndmask_b32_e64 v2, v3, 1, vcc_lo
	v_cmp_gt_u64_e32 vcc_lo, s[18:19], v[35:36]
	s_delay_alu instid0(VALU_DEP_2) | instskip(SKIP_1) | instid1(VALU_DEP_2)
	v_cndmask_b32_e64 v2, v2, v36, s2
	v_cndmask_b32_e32 v3, 0, v14, vcc_lo
	v_and_b32_e32 v2, 0xff, v2
	s_delay_alu instid0(VALU_DEP_2) | instskip(NEXT) | instid1(VALU_DEP_2)
	v_cndmask_b32_e64 v3, v3, 0, s2
	v_cmp_eq_u16_e32 vcc_lo, 0, v2
	s_waitcnt lgkmcnt(0)
	v_cndmask_b32_e32 v1, 0, v1, vcc_lo
	s_delay_alu instid0(VALU_DEP_1) | instskip(NEXT) | instid1(VALU_DEP_1)
	v_add3_u32 v23, v3, v35, v1
	v_cndmask_b32_e64 v1, 0, v23, s0
	s_delay_alu instid0(VALU_DEP_1) | instskip(NEXT) | instid1(VALU_DEP_1)
	v_add_nc_u32_e32 v4, v1, v37
	v_cndmask_b32_e64 v1, 0, v4, s1
	s_delay_alu instid0(VALU_DEP_1) | instskip(NEXT) | instid1(VALU_DEP_1)
	v_add_nc_u32_e32 v5, v1, v39
	;; [unrolled: 3-line block ×14, first 2 shown]
	v_cndmask_b32_e64 v1, 0, v21, s16
	s_delay_alu instid0(VALU_DEP_1)
	v_add_nc_u32_e32 v22, v1, v6
	s_branch .LBB21_314
.LBB21_296:
                                        ; implicit-def: $vgpr23
                                        ; implicit-def: $vgpr4
                                        ; implicit-def: $vgpr5
                                        ; implicit-def: $vgpr8
                                        ; implicit-def: $vgpr9
                                        ; implicit-def: $vgpr10
                                        ; implicit-def: $vgpr11
                                        ; implicit-def: $vgpr14
                                        ; implicit-def: $vgpr15
                                        ; implicit-def: $vgpr16
                                        ; implicit-def: $vgpr17
                                        ; implicit-def: $vgpr18
                                        ; implicit-def: $vgpr19
                                        ; implicit-def: $vgpr20
                                        ; implicit-def: $vgpr21
                                        ; implicit-def: $vgpr22
	s_cbranch_execz .LBB21_314
; %bb.297:
	s_cmp_lg_u64 s[44:45], 0
	s_mov_b32 s16, 0
	s_cselect_b32 s1, s23, 0
	s_cselect_b32 s0, s22, 0
	s_delay_alu instid0(SALU_CYCLE_1) | instskip(SKIP_1) | instid1(SALU_CYCLE_1)
	s_cmp_lg_u64 s[0:1], 0
	s_cselect_b32 s4, -1, 0
	s_and_b32 s5, s2, s4
	s_delay_alu instid0(SALU_CYCLE_1)
	s_and_saveexec_b32 s4, s5
	s_cbranch_execz .LBB21_299
; %bb.298:
	s_mov_b32 s17, 1
	s_delay_alu instid0(SALU_CYCLE_1)
	v_cmp_gt_u64_e32 vcc_lo, s[16:17], v[35:36]
	v_mov_b32_e32 v1, 0
	s_clause 0x1
	global_load_b32 v2, v1, s[0:1]
	global_load_u8 v3, v1, s[0:1] offset:4
	s_waitcnt vmcnt(1)
	v_cndmask_b32_e32 v4, 0, v2, vcc_lo
	v_and_b32_e32 v2, 1, v36
	s_waitcnt vmcnt(0)
	v_and_b32_e32 v3, 1, v3
	s_delay_alu instid0(VALU_DEP_3) | instskip(NEXT) | instid1(VALU_DEP_3)
	v_add_nc_u32_e32 v35, v4, v35
	v_cmp_eq_u64_e32 vcc_lo, 0, v[1:2]
	s_delay_alu instid0(VALU_DEP_3)
	v_cndmask_b32_e32 v36, 1, v3, vcc_lo
.LBB21_299:
	s_or_b32 exec_lo, exec_lo, s4
	s_mov_b32 s17, 1
	v_or3_b32 v2, v13, v60, v58
	v_cmp_gt_u64_e32 vcc_lo, s[16:17], v[37:38]
	v_cmp_gt_u64_e64 s0, s[16:17], v[39:40]
	v_cmp_gt_u64_e64 s1, s[16:17], v[41:42]
	;; [unrolled: 1-line block ×5, first 2 shown]
	v_cndmask_b32_e32 v1, 0, v35, vcc_lo
	v_cmp_gt_u64_e64 s7, s[16:17], v[49:50]
	v_cmp_gt_u64_e64 s8, s[16:17], v[51:52]
	;; [unrolled: 1-line block ×4, first 2 shown]
	v_add_nc_u32_e32 v4, v1, v37
	v_cmp_gt_u64_e64 s11, s[16:17], v[57:58]
	v_cmp_gt_u64_e64 s12, s[16:17], v[59:60]
	;; [unrolled: 1-line block ×4, first 2 shown]
	v_cndmask_b32_e64 v1, 0, v4, s0
	v_cmp_gt_u64_e64 s15, s[16:17], v[6:7]
	v_add_lshl_u32 v3, v12, v0, 3
	s_mov_b32 s17, exec_lo
	s_delay_alu instid0(VALU_DEP_3) | instskip(NEXT) | instid1(VALU_DEP_1)
	v_add_nc_u32_e32 v5, v1, v39
	v_cndmask_b32_e64 v1, 0, v5, s1
	s_delay_alu instid0(VALU_DEP_1) | instskip(NEXT) | instid1(VALU_DEP_1)
	v_add_nc_u32_e32 v8, v1, v41
	v_cndmask_b32_e64 v1, 0, v8, s4
	s_delay_alu instid0(VALU_DEP_1) | instskip(NEXT) | instid1(VALU_DEP_1)
	;; [unrolled: 3-line block ×9, first 2 shown]
	v_add_nc_u32_e32 v18, v1, v57
	v_cndmask_b32_e64 v1, 0, v18, s12
	s_delay_alu instid0(VALU_DEP_1) | instskip(SKIP_1) | instid1(VALU_DEP_2)
	v_add_nc_u32_e32 v19, v1, v59
	v_or3_b32 v1, v2, v56, v54
	v_cndmask_b32_e64 v2, 0, v19, s13
	s_delay_alu instid0(VALU_DEP_2) | instskip(NEXT) | instid1(VALU_DEP_2)
	v_or3_b32 v1, v1, v52, v50
	v_add_nc_u32_e32 v20, v2, v61
	s_delay_alu instid0(VALU_DEP_2) | instskip(NEXT) | instid1(VALU_DEP_2)
	v_or3_b32 v1, v1, v48, v46
	v_cndmask_b32_e64 v2, 0, v20, s14
	s_delay_alu instid0(VALU_DEP_2) | instskip(NEXT) | instid1(VALU_DEP_2)
	v_or3_b32 v1, v1, v44, v42
	v_add_nc_u32_e32 v21, v2, v63
	s_delay_alu instid0(VALU_DEP_2) | instskip(NEXT) | instid1(VALU_DEP_2)
	v_or3_b32 v1, v1, v40, v38
	v_cndmask_b32_e64 v2, 0, v21, s15
	s_delay_alu instid0(VALU_DEP_2) | instskip(NEXT) | instid1(VALU_DEP_2)
	v_and_b32_e32 v1, 1, v1
	v_add_nc_u32_e32 v22, v2, v6
	s_delay_alu instid0(VALU_DEP_2) | instskip(NEXT) | instid1(VALU_DEP_1)
	v_cmp_eq_u32_e64 s16, 1, v1
	v_cndmask_b32_e64 v7, v36, 1, s16
	ds_store_b32 v3, v22
	ds_store_b8 v3, v7 offset:4
	s_waitcnt lgkmcnt(0)
	s_barrier
	buffer_gl0_inv
	v_cmpx_gt_u32_e32 32, v0
	s_cbranch_execz .LBB21_309
; %bb.300:
	v_lshlrev_b32_e32 v1, 1, v0
	s_mov_b32 s18, exec_lo
	s_delay_alu instid0(VALU_DEP_1) | instskip(NEXT) | instid1(VALU_DEP_1)
	v_and_b32_e32 v1, 0x1f8, v1
	v_lshl_or_b32 v3, v0, 6, v1
	ds_load_u8 v13, v3 offset:12
	ds_load_b64 v[1:2], v3
	ds_load_u8 v27, v3 offset:20
	ds_load_2addr_b32 v[23:24], v3 offset0:2 offset1:4
	ds_load_u8 v28, v3 offset:28
	ds_load_u8 v29, v3 offset:36
	;; [unrolled: 1-line block ×4, first 2 shown]
	ds_load_b32 v32, v3 offset:56
	ds_load_u8 v33, v3 offset:60
	s_waitcnt lgkmcnt(9)
	v_and_b32_e32 v25, 0xff, v13
	s_waitcnt lgkmcnt(7)
	v_and_b32_e32 v38, 0xff, v27
	s_delay_alu instid0(VALU_DEP_2)
	v_cmp_eq_u16_e64 s16, 0, v25
	ds_load_2addr_b32 v[25:26], v3 offset0:6 offset1:8
	s_waitcnt lgkmcnt(5)
	v_and_b32_e32 v40, 0xff, v29
	v_cndmask_b32_e64 v34, 0, v1, s16
	v_cmp_eq_u16_e64 s16, 0, v38
	s_delay_alu instid0(VALU_DEP_2) | instskip(SKIP_1) | instid1(VALU_DEP_2)
	v_add_nc_u32_e32 v23, v34, v23
	v_and_b32_e32 v34, 0xff, v28
	v_cndmask_b32_e64 v23, 0, v23, s16
	s_delay_alu instid0(VALU_DEP_2) | instskip(NEXT) | instid1(VALU_DEP_2)
	v_cmp_eq_u16_e64 s16, 0, v34
	v_add_nc_u32_e32 v23, v23, v24
	s_waitcnt lgkmcnt(1)
	v_or_b32_e32 v24, v33, v31
	s_delay_alu instid0(VALU_DEP_2) | instskip(NEXT) | instid1(VALU_DEP_2)
	v_cndmask_b32_e64 v34, 0, v23, s16
	v_or_b32_e32 v38, v24, v30
	ds_load_2addr_b32 v[23:24], v3 offset0:10 offset1:12
	v_cmp_eq_u16_e64 s16, 0, v40
	s_waitcnt lgkmcnt(1)
	v_add_nc_u32_e32 v25, v34, v25
	v_or_b32_e32 v29, v38, v29
	s_delay_alu instid0(VALU_DEP_2) | instskip(NEXT) | instid1(VALU_DEP_2)
	v_cndmask_b32_e64 v25, 0, v25, s16
	v_or_b32_e32 v28, v29, v28
	v_and_b32_e32 v29, 0xff, v30
	s_delay_alu instid0(VALU_DEP_3) | instskip(NEXT) | instid1(VALU_DEP_3)
	v_add_nc_u32_e32 v25, v25, v26
	v_or_b32_e32 v26, v28, v27
	s_delay_alu instid0(VALU_DEP_3) | instskip(NEXT) | instid1(VALU_DEP_2)
	v_cmp_eq_u16_e64 s16, 0, v29
	v_or_b32_e32 v13, v26, v13
	s_delay_alu instid0(VALU_DEP_2) | instskip(SKIP_2) | instid1(VALU_DEP_2)
	v_cndmask_b32_e64 v25, 0, v25, s16
	v_and_b32_e32 v26, 0xff, v31
	s_waitcnt lgkmcnt(0)
	v_add_nc_u32_e32 v23, v25, v23
	v_and_b32_e32 v25, 1, v13
	s_delay_alu instid0(VALU_DEP_3) | instskip(SKIP_1) | instid1(VALU_DEP_2)
	v_cmp_eq_u16_e64 s16, 0, v26
	v_and_b32_e32 v13, 1, v2
	v_cndmask_b32_e64 v23, 0, v23, s16
	s_delay_alu instid0(VALU_DEP_4) | instskip(SKIP_1) | instid1(VALU_DEP_3)
	v_cmp_eq_u32_e64 s16, 1, v25
	v_mbcnt_lo_u32_b32 v25, -1, 0
	v_add_nc_u32_e32 v24, v23, v24
	s_delay_alu instid0(VALU_DEP_3) | instskip(SKIP_2) | instid1(VALU_DEP_3)
	v_cndmask_b32_e64 v26, v13, 1, s16
	v_cmp_eq_u16_e64 s16, 0, v33
	v_and_b32_e32 v23, 0xffffff00, v2
	v_and_b32_e32 v27, 0xffff, v26
	s_delay_alu instid0(VALU_DEP_3) | instskip(NEXT) | instid1(VALU_DEP_2)
	v_cndmask_b32_e64 v24, 0, v24, s16
	v_or_b32_e32 v28, v23, v27
	s_delay_alu instid0(VALU_DEP_2) | instskip(SKIP_1) | instid1(VALU_DEP_3)
	v_add_nc_u32_e32 v24, v24, v32
	v_and_b32_e32 v27, 15, v25
	v_mov_b32_dpp v30, v28 row_shr:1 row_mask:0xf bank_mask:0xf
	s_delay_alu instid0(VALU_DEP_3) | instskip(NEXT) | instid1(VALU_DEP_3)
	v_mov_b32_dpp v29, v24 row_shr:1 row_mask:0xf bank_mask:0xf
	v_cmpx_ne_u32_e32 0, v27
; %bb.301:
	v_and_b32_e32 v28, 1, v26
	s_delay_alu instid0(VALU_DEP_4) | instskip(NEXT) | instid1(VALU_DEP_2)
	v_and_b32_e32 v30, 1, v30
	v_cmp_eq_u32_e64 s16, 1, v28
	s_delay_alu instid0(VALU_DEP_1) | instskip(SKIP_1) | instid1(VALU_DEP_2)
	v_cndmask_b32_e64 v30, v30, 1, s16
	v_cmp_eq_u16_e64 s16, 0, v26
	v_and_b32_e32 v28, 0xffff, v30
	s_delay_alu instid0(VALU_DEP_2) | instskip(NEXT) | instid1(VALU_DEP_2)
	v_cndmask_b32_e64 v26, 0, v29, s16
	v_or_b32_e32 v28, v23, v28
	s_delay_alu instid0(VALU_DEP_2)
	v_add_nc_u32_e32 v24, v26, v24
	v_mov_b32_e32 v26, v30
; %bb.302:
	s_or_b32 exec_lo, exec_lo, s18
	s_delay_alu instid0(VALU_DEP_2)
	v_mov_b32_dpp v29, v24 row_shr:2 row_mask:0xf bank_mask:0xf
	v_mov_b32_dpp v30, v28 row_shr:2 row_mask:0xf bank_mask:0xf
	s_mov_b32 s18, exec_lo
	v_cmpx_lt_u32_e32 1, v27
; %bb.303:
	v_and_b32_e32 v28, 1, v26
	s_delay_alu instid0(VALU_DEP_3) | instskip(NEXT) | instid1(VALU_DEP_2)
	v_and_b32_e32 v30, 1, v30
	v_cmp_eq_u32_e64 s16, 1, v28
	s_delay_alu instid0(VALU_DEP_1) | instskip(SKIP_1) | instid1(VALU_DEP_2)
	v_cndmask_b32_e64 v30, v30, 1, s16
	v_cmp_eq_u16_e64 s16, 0, v26
	v_and_b32_e32 v28, 0xffff, v30
	s_delay_alu instid0(VALU_DEP_2) | instskip(NEXT) | instid1(VALU_DEP_2)
	v_cndmask_b32_e64 v26, 0, v29, s16
	v_or_b32_e32 v28, v23, v28
	s_delay_alu instid0(VALU_DEP_2)
	v_add_nc_u32_e32 v24, v26, v24
	v_mov_b32_e32 v26, v30
; %bb.304:
	s_or_b32 exec_lo, exec_lo, s18
	s_delay_alu instid0(VALU_DEP_2)
	v_mov_b32_dpp v29, v24 row_shr:4 row_mask:0xf bank_mask:0xf
	v_mov_b32_dpp v30, v28 row_shr:4 row_mask:0xf bank_mask:0xf
	s_mov_b32 s18, exec_lo
	v_cmpx_lt_u32_e32 3, v27
; %bb.305:
	v_and_b32_e32 v28, 1, v26
	s_delay_alu instid0(VALU_DEP_3) | instskip(NEXT) | instid1(VALU_DEP_2)
	;; [unrolled: 22-line block ×3, first 2 shown]
	v_and_b32_e32 v28, 1, v30
	v_cmp_eq_u32_e64 s16, 1, v27
	s_delay_alu instid0(VALU_DEP_1) | instskip(SKIP_1) | instid1(VALU_DEP_2)
	v_cndmask_b32_e64 v27, v28, 1, s16
	v_cmp_eq_u16_e64 s16, 0, v26
	v_and_b32_e32 v28, 0xffff, v27
	s_delay_alu instid0(VALU_DEP_2) | instskip(NEXT) | instid1(VALU_DEP_2)
	v_cndmask_b32_e64 v26, 0, v29, s16
	v_or_b32_e32 v28, v23, v28
	s_delay_alu instid0(VALU_DEP_2)
	v_add_nc_u32_e32 v24, v26, v24
	v_mov_b32_e32 v26, v27
; %bb.308:
	s_or_b32 exec_lo, exec_lo, s18
	ds_swizzle_b32 v27, v28 offset:swizzle(BROADCAST,32,15)
	ds_swizzle_b32 v28, v24 offset:swizzle(BROADCAST,32,15)
	v_and_b32_e32 v29, 1, v26
	v_and_b32_e32 v30, 16, v25
	v_bfe_i32 v31, v25, 4, 1
	v_and_b32_e32 v2, 0xff, v2
	s_delay_alu instid0(VALU_DEP_4) | instskip(SKIP_3) | instid1(VALU_DEP_1)
	v_cmp_eq_u32_e64 s16, 1, v29
	v_add_nc_u32_e32 v29, -1, v25
	; wave barrier
	s_waitcnt lgkmcnt(1)
	v_and_b32_e32 v27, 1, v27
	v_cndmask_b32_e64 v27, v27, 1, s16
	v_cmp_eq_u16_e64 s16, 0, v26
	s_waitcnt lgkmcnt(0)
	s_delay_alu instid0(VALU_DEP_1) | instskip(SKIP_1) | instid1(VALU_DEP_1)
	v_cndmask_b32_e64 v28, 0, v28, s16
	v_cmp_eq_u32_e64 s16, 0, v30
	v_cndmask_b32_e64 v26, v27, v26, s16
	v_cmp_gt_i32_e64 s16, 0, v29
	s_delay_alu instid0(VALU_DEP_4) | instskip(NEXT) | instid1(VALU_DEP_3)
	v_and_b32_e32 v27, v31, v28
	v_and_b32_e32 v26, 0xffff, v26
	s_delay_alu instid0(VALU_DEP_3) | instskip(NEXT) | instid1(VALU_DEP_3)
	v_cndmask_b32_e64 v25, v29, v25, s16
	v_add_nc_u32_e32 v24, v27, v24
	v_cmp_eq_u16_e64 s16, 0, v2
	s_delay_alu instid0(VALU_DEP_4) | instskip(NEXT) | instid1(VALU_DEP_4)
	v_or_b32_e32 v23, v23, v26
	v_lshlrev_b32_e32 v25, 2, v25
	ds_bpermute_b32 v24, v25, v24
	ds_bpermute_b32 v23, v25, v23
	s_waitcnt lgkmcnt(1)
	v_cndmask_b32_e64 v2, 0, v24, s16
	s_waitcnt lgkmcnt(0)
	v_and_b32_e32 v23, 1, v23
	v_cmp_eq_u32_e64 s16, 1, v13
	s_delay_alu instid0(VALU_DEP_3) | instskip(NEXT) | instid1(VALU_DEP_2)
	v_add_nc_u32_e32 v1, v2, v1
	v_cndmask_b32_e64 v2, v23, 1, s16
	s_delay_alu instid0(VALU_DEP_2) | instskip(NEXT) | instid1(VALU_DEP_2)
	v_cndmask_b32_e64 v13, v1, v22, s2
	v_cndmask_b32_e64 v7, v2, v7, s2
	ds_store_b32 v3, v13
	ds_store_b8 v3, v7 offset:4
	; wave barrier
	ds_load_u8 v25, v3 offset:12
	ds_load_2addr_b32 v[1:2], v3 offset0:2 offset1:4
	ds_load_u8 v26, v3 offset:20
	ds_load_u8 v27, v3 offset:28
	;; [unrolled: 1-line block ×5, first 2 shown]
	ds_load_b32 v31, v3 offset:56
	ds_load_u8 v32, v3 offset:60
	ds_load_2addr_b32 v[23:24], v3 offset0:6 offset1:8
	s_waitcnt lgkmcnt(9)
	v_cmp_eq_u16_e64 s16, 0, v25
	v_and_b32_e32 v25, 1, v25
	s_delay_alu instid0(VALU_DEP_2) | instskip(SKIP_3) | instid1(VALU_DEP_3)
	v_cndmask_b32_e64 v13, 0, v13, s16
	s_waitcnt lgkmcnt(7)
	v_cmp_eq_u16_e64 s16, 0, v26
	v_and_b32_e32 v26, 1, v26
	v_add_nc_u32_e32 v13, v13, v1
	s_delay_alu instid0(VALU_DEP_1) | instskip(SKIP_2) | instid1(VALU_DEP_2)
	v_cndmask_b32_e64 v1, 0, v13, s16
	s_waitcnt lgkmcnt(6)
	v_cmp_eq_u16_e64 s16, 0, v27
	v_add_nc_u32_e32 v33, v1, v2
	ds_load_2addr_b32 v[1:2], v3 offset0:10 offset1:12
	v_cndmask_b32_e64 v34, 0, v33, s16
	s_waitcnt lgkmcnt(6)
	v_cmp_eq_u16_e64 s16, 0, v28
	ds_store_2addr_b32 v3, v13, v33 offset0:2 offset1:4
	s_waitcnt lgkmcnt(2)
	v_add_nc_u32_e32 v23, v34, v23
	s_delay_alu instid0(VALU_DEP_1) | instskip(SKIP_3) | instid1(VALU_DEP_4)
	v_cndmask_b32_e64 v34, 0, v23, s16
	v_cmp_eq_u32_e64 s16, 1, v25
	v_and_b32_e32 v25, 1, v27
	v_and_b32_e32 v27, 1, v28
	v_add_nc_u32_e32 v24, v34, v24
	s_delay_alu instid0(VALU_DEP_4) | instskip(SKIP_2) | instid1(VALU_DEP_2)
	v_cndmask_b32_e64 v7, v7, 1, s16
	v_cmp_eq_u32_e64 s16, 1, v26
	v_and_b32_e32 v34, 1, v32
	v_cndmask_b32_e64 v26, v7, 1, s16
	v_cmp_eq_u16_e64 s16, 0, v29
	v_and_b32_e32 v29, 1, v29
	s_delay_alu instid0(VALU_DEP_2) | instskip(SKIP_2) | instid1(VALU_DEP_2)
	v_cndmask_b32_e64 v28, 0, v24, s16
	v_cmp_eq_u32_e64 s16, 1, v25
	s_waitcnt lgkmcnt(1)
	v_add_nc_u32_e32 v1, v28, v1
	s_delay_alu instid0(VALU_DEP_2) | instskip(SKIP_2) | instid1(VALU_DEP_2)
	v_cndmask_b32_e64 v25, v26, 1, s16
	v_cmp_eq_u32_e64 s16, 1, v27
	v_and_b32_e32 v28, 1, v30
	v_cndmask_b32_e64 v27, v25, 1, s16
	v_cmp_eq_u16_e64 s16, 0, v30
	s_delay_alu instid0(VALU_DEP_1) | instskip(SKIP_1) | instid1(VALU_DEP_2)
	v_cndmask_b32_e64 v30, 0, v1, s16
	v_cmp_eq_u32_e64 s16, 1, v29
	v_add_nc_u32_e32 v2, v30, v2
	s_delay_alu instid0(VALU_DEP_2)
	v_cndmask_b32_e64 v29, v27, 1, s16
	v_cmp_eq_u32_e64 s16, 1, v28
	ds_store_2addr_b32 v3, v23, v24 offset0:6 offset1:8
	ds_store_2addr_b32 v3, v1, v2 offset0:10 offset1:12
	v_cndmask_b32_e64 v28, v29, 1, s16
	v_cmp_eq_u16_e64 s16, 0, v32
	s_delay_alu instid0(VALU_DEP_1) | instskip(SKIP_1) | instid1(VALU_DEP_2)
	v_cndmask_b32_e64 v13, 0, v2, s16
	v_cmp_eq_u32_e64 s16, 1, v34
	v_add_nc_u32_e32 v1, v13, v31
	s_delay_alu instid0(VALU_DEP_2)
	v_cndmask_b32_e64 v30, v28, 1, s16
	ds_store_b8 v3, v7 offset:12
	ds_store_b8 v3, v26 offset:20
	;; [unrolled: 1-line block ×6, first 2 shown]
	ds_store_b32 v3, v1 offset:56
	ds_store_b8 v3, v30 offset:60
.LBB21_309:
	s_or_b32 exec_lo, exec_lo, s17
	v_mov_b32_e32 v1, v22
	s_waitcnt lgkmcnt(0)
	s_barrier
	buffer_gl0_inv
	s_and_saveexec_b32 s16, s3
	s_cbranch_execnz .LBB21_337
; %bb.310:
	s_or_b32 exec_lo, exec_lo, s16
	s_and_saveexec_b32 s16, s3
	s_cbranch_execnz .LBB21_338
.LBB21_311:
	s_or_b32 exec_lo, exec_lo, s16
	s_and_saveexec_b32 s0, s2
	s_cbranch_execz .LBB21_313
.LBB21_312:
	v_dual_mov_b32 v26, 0 :: v_dual_mov_b32 v25, 2
	s_add_u32 s2, s28, 0x200
	s_addc_u32 s3, s29, 0
	s_waitcnt lgkmcnt(0)
	v_dual_mov_b32 v1, s2 :: v_dual_mov_b32 v2, s3
	ds_load_b32 v23, v26 offset:2096
	ds_load_u8 v24, v26 offset:2100
	s_waitcnt lgkmcnt(0)
	;;#ASMSTART
	global_store_dwordx4 v[1:2], v[23:26] off	
s_waitcnt vmcnt(0)
	;;#ASMEND
.LBB21_313:
	s_or_b32 exec_lo, exec_lo, s0
	v_mov_b32_e32 v23, v35
.LBB21_314:
	s_add_u32 s0, s34, s36
	v_lshlrev_b32_e32 v37, 1, v0
	v_or_b32_e32 v36, 0x100, v0
	v_or_b32_e32 v35, 0x200, v0
	;; [unrolled: 1-line block ×15, first 2 shown]
	v_lshlrev_b32_e32 v6, 2, v0
	s_addc_u32 s1, s35, s37
	s_add_u32 s0, s0, s24
	s_addc_u32 s1, s1, s25
	s_and_b32 vcc_lo, exec_lo, s21
	s_cbranch_vccz .LBB21_332
; %bb.315:
	s_waitcnt lgkmcnt(0)
	v_and_b32_e32 v1, 0x1fc, v37
	s_barrier
	buffer_gl0_inv
	v_lshrrev_b32_e32 v2, 5, v35
	v_lshl_add_u32 v1, v0, 6, v1
	v_lshrrev_b32_e32 v3, 5, v34
	v_lshrrev_b32_e32 v38, 5, v33
	;; [unrolled: 1-line block ×4, first 2 shown]
	ds_store_2addr_b32 v1, v23, v4 offset1:1
	ds_store_2addr_b32 v1, v5, v8 offset0:2 offset1:3
	ds_store_2addr_b32 v1, v9, v10 offset0:4 offset1:5
	;; [unrolled: 1-line block ×7, first 2 shown]
	v_lshrrev_b32_e32 v1, 5, v36
	v_lshrrev_b32_e32 v41, 5, v30
	;; [unrolled: 1-line block ×3, first 2 shown]
	v_add_lshl_u32 v2, v2, v0, 2
	v_add_lshl_u32 v3, v3, v0, 2
	;; [unrolled: 1-line block ×4, first 2 shown]
	v_lshrrev_b32_e32 v43, 5, v28
	v_add_lshl_u32 v39, v39, v0, 2
	v_lshrrev_b32_e32 v45, 5, v27
	s_waitcnt lgkmcnt(0)
	s_barrier
	buffer_gl0_inv
	v_add_lshl_u32 v40, v40, v0, 2
	v_add_lshl_u32 v41, v41, v0, 2
	;; [unrolled: 1-line block ×3, first 2 shown]
	ds_load_b32 v52, v1 offset:1024
	ds_load_b32 v51, v2 offset:2048
	;; [unrolled: 1-line block ×8, first 2 shown]
	v_lshrrev_b32_e32 v3, 5, v26
	v_lshrrev_b32_e32 v38, 5, v25
	;; [unrolled: 1-line block ×3, first 2 shown]
	v_add_lshl_u32 v1, v43, v0, 2
	v_lshrrev_b32_e32 v40, 5, v13
	v_lshrrev_b32_e32 v41, 5, v7
	v_add_lshl_u32 v2, v45, v0, 2
	v_add_lshl_u32 v3, v3, v0, 2
	;; [unrolled: 1-line block ×6, first 2 shown]
	ds_load_b32 v45, v1 offset:9216
	ds_load_b32 v43, v2 offset:10240
	;; [unrolled: 1-line block ×7, first 2 shown]
	v_add_co_u32 v2, s3, s0, v6
	v_mov_b32_e32 v1, 0
	v_add_co_ci_u32_e64 v3, null, s1, 0, s3
	s_lshl_b32 s2, s20, 12
	s_mov_b32 s3, exec_lo
	s_sub_i32 s2, s30, s2
	s_delay_alu instid0(SALU_CYCLE_1)
	v_cmpx_gt_u32_e64 s2, v0
	s_cbranch_execnz .LBB21_339
; %bb.316:
	s_or_b32 exec_lo, exec_lo, s3
	s_delay_alu instid0(SALU_CYCLE_1)
	s_mov_b32 s3, exec_lo
	v_cmpx_gt_u32_e64 s2, v36
	s_cbranch_execnz .LBB21_340
.LBB21_317:
	s_or_b32 exec_lo, exec_lo, s3
	s_delay_alu instid0(SALU_CYCLE_1)
	s_mov_b32 s3, exec_lo
	v_cmpx_gt_u32_e64 s2, v35
	s_cbranch_execnz .LBB21_341
.LBB21_318:
	s_or_b32 exec_lo, exec_lo, s3
	s_delay_alu instid0(SALU_CYCLE_1)
	s_mov_b32 s3, exec_lo
	v_cmpx_gt_u32_e64 s2, v34
	s_cbranch_execnz .LBB21_342
.LBB21_319:
	s_or_b32 exec_lo, exec_lo, s3
	s_delay_alu instid0(SALU_CYCLE_1)
	s_mov_b32 s3, exec_lo
	v_cmpx_gt_u32_e64 s2, v33
	s_cbranch_execnz .LBB21_343
.LBB21_320:
	s_or_b32 exec_lo, exec_lo, s3
	s_delay_alu instid0(SALU_CYCLE_1)
	s_mov_b32 s3, exec_lo
	v_cmpx_gt_u32_e64 s2, v32
	s_cbranch_execnz .LBB21_344
.LBB21_321:
	s_or_b32 exec_lo, exec_lo, s3
	s_delay_alu instid0(SALU_CYCLE_1)
	s_mov_b32 s3, exec_lo
	v_cmpx_gt_u32_e64 s2, v31
	s_cbranch_execnz .LBB21_345
.LBB21_322:
	s_or_b32 exec_lo, exec_lo, s3
	s_delay_alu instid0(SALU_CYCLE_1)
	s_mov_b32 s3, exec_lo
	v_cmpx_gt_u32_e64 s2, v30
	s_cbranch_execnz .LBB21_346
.LBB21_323:
	s_or_b32 exec_lo, exec_lo, s3
	s_delay_alu instid0(SALU_CYCLE_1)
	s_mov_b32 s3, exec_lo
	v_cmpx_gt_u32_e64 s2, v29
	s_cbranch_execnz .LBB21_347
.LBB21_324:
	s_or_b32 exec_lo, exec_lo, s3
	s_delay_alu instid0(SALU_CYCLE_1)
	s_mov_b32 s3, exec_lo
	v_cmpx_gt_u32_e64 s2, v28
	s_cbranch_execnz .LBB21_348
.LBB21_325:
	s_or_b32 exec_lo, exec_lo, s3
	s_delay_alu instid0(SALU_CYCLE_1)
	s_mov_b32 s3, exec_lo
	v_cmpx_gt_u32_e64 s2, v27
	s_cbranch_execnz .LBB21_349
.LBB21_326:
	s_or_b32 exec_lo, exec_lo, s3
	s_delay_alu instid0(SALU_CYCLE_1)
	s_mov_b32 s3, exec_lo
	v_cmpx_gt_u32_e64 s2, v26
	s_cbranch_execnz .LBB21_350
.LBB21_327:
	s_or_b32 exec_lo, exec_lo, s3
	s_delay_alu instid0(SALU_CYCLE_1)
	s_mov_b32 s3, exec_lo
	v_cmpx_gt_u32_e64 s2, v25
	s_cbranch_execnz .LBB21_351
.LBB21_328:
	s_or_b32 exec_lo, exec_lo, s3
	s_delay_alu instid0(SALU_CYCLE_1)
	s_mov_b32 s3, exec_lo
	v_cmpx_gt_u32_e64 s2, v24
	s_cbranch_execnz .LBB21_352
.LBB21_329:
	s_or_b32 exec_lo, exec_lo, s3
	s_delay_alu instid0(SALU_CYCLE_1)
	s_mov_b32 s3, exec_lo
	v_cmpx_gt_u32_e64 s2, v13
	s_cbranch_execz .LBB21_331
.LBB21_330:
	v_add_co_u32 v2, vcc_lo, 0x3000, v2
	v_add_co_ci_u32_e32 v3, vcc_lo, 0, v3, vcc_lo
	s_waitcnt lgkmcnt(1)
	flat_store_b32 v[2:3], v39 offset:2048
.LBB21_331:
	s_or_b32 exec_lo, exec_lo, s3
	v_cmp_gt_u32_e64 s2, s2, v7
	s_branch .LBB21_334
.LBB21_332:
	s_mov_b32 s2, 0
                                        ; implicit-def: $vgpr38
	s_cbranch_execz .LBB21_334
; %bb.333:
	s_waitcnt lgkmcnt(0)
	v_and_b32_e32 v1, 0x1fc, v37
	s_waitcnt_vscnt null, 0x0
	s_barrier
	buffer_gl0_inv
	v_lshrrev_b32_e32 v2, 5, v35
	v_lshl_add_u32 v1, v0, 6, v1
	v_add_lshl_u32 v3, v12, v0, 2
	v_lshrrev_b32_e32 v12, 5, v28
	v_lshrrev_b32_e32 v7, 5, v7
	v_add_lshl_u32 v2, v2, v0, 2
	ds_store_2addr_b32 v1, v23, v4 offset1:1
	ds_store_2addr_b32 v1, v5, v8 offset0:2 offset1:3
	ds_store_2addr_b32 v1, v9, v10 offset0:4 offset1:5
	;; [unrolled: 1-line block ×7, first 2 shown]
	v_lshrrev_b32_e32 v1, 5, v36
	v_lshrrev_b32_e32 v4, 5, v34
	;; [unrolled: 1-line block ×6, first 2 shown]
	v_add_lshl_u32 v1, v1, v0, 2
	v_lshrrev_b32_e32 v11, 5, v29
	v_add_lshl_u32 v4, v4, v0, 2
	v_add_lshl_u32 v5, v5, v0, 2
	;; [unrolled: 1-line block ×5, first 2 shown]
	s_waitcnt lgkmcnt(0)
	s_barrier
	buffer_gl0_inv
	v_lshrrev_b32_e32 v14, 5, v27
	ds_load_b32 v15, v3
	ds_load_b32 v16, v1 offset:1024
	ds_load_b32 v17, v2 offset:2048
	;; [unrolled: 1-line block ×7, first 2 shown]
	v_lshrrev_b32_e32 v4, 5, v26
	v_add_lshl_u32 v1, v11, v0, 2
	v_add_lshl_u32 v2, v12, v0, 2
	v_lshrrev_b32_e32 v5, 5, v25
	v_lshrrev_b32_e32 v11, 5, v24
	;; [unrolled: 1-line block ×3, first 2 shown]
	v_add_lshl_u32 v3, v14, v0, 2
	v_add_lshl_u32 v4, v4, v0, 2
	;; [unrolled: 1-line block ×6, first 2 shown]
	ds_load_b32 v13, v1 offset:8192
	ds_load_b32 v14, v2 offset:9216
	ds_load_b32 v20, v3 offset:10240
	ds_load_b32 v21, v4 offset:11264
	ds_load_b32 v22, v5 offset:12288
	ds_load_b32 v11, v11 offset:13312
	ds_load_b32 v12, v12 offset:14336
	ds_load_b32 v38, v7 offset:15360
	v_add_co_u32 v2, s3, s0, v6
	s_delay_alu instid0(VALU_DEP_1) | instskip(SKIP_1) | instid1(VALU_DEP_3)
	v_add_co_ci_u32_e64 v3, null, s1, 0, s3
	v_mov_b32_e32 v1, 0
	v_add_co_u32 v4, vcc_lo, 0x1000, v2
	s_delay_alu instid0(VALU_DEP_3)
	v_add_co_ci_u32_e32 v5, vcc_lo, 0, v3, vcc_lo
	s_waitcnt lgkmcnt(15)
	flat_store_b32 v[2:3], v15
	s_waitcnt lgkmcnt(15)
	flat_store_b32 v[2:3], v16 offset:1024
	s_waitcnt lgkmcnt(15)
	flat_store_b32 v[2:3], v17 offset:2048
	;; [unrolled: 2-line block ×3, first 2 shown]
	s_waitcnt lgkmcnt(15)
	flat_store_b32 v[4:5], v19
	s_waitcnt lgkmcnt(15)
	flat_store_b32 v[4:5], v8 offset:1024
	s_waitcnt lgkmcnt(15)
	flat_store_b32 v[4:5], v9 offset:2048
	;; [unrolled: 2-line block ×3, first 2 shown]
	v_add_co_u32 v4, vcc_lo, 0x2000, v2
	v_add_co_ci_u32_e32 v5, vcc_lo, 0, v3, vcc_lo
	v_add_co_u32 v2, vcc_lo, 0x3000, v2
	s_or_b32 s2, s2, exec_lo
	v_add_co_ci_u32_e32 v3, vcc_lo, 0, v3, vcc_lo
	s_waitcnt lgkmcnt(15)
	flat_store_b32 v[4:5], v13
	s_waitcnt lgkmcnt(15)
	flat_store_b32 v[4:5], v14 offset:1024
	s_waitcnt lgkmcnt(15)
	flat_store_b32 v[4:5], v20 offset:2048
	;; [unrolled: 2-line block ×3, first 2 shown]
	s_waitcnt lgkmcnt(15)
	flat_store_b32 v[2:3], v22
	s_waitcnt lgkmcnt(15)
	flat_store_b32 v[2:3], v11 offset:1024
	s_waitcnt lgkmcnt(15)
	flat_store_b32 v[2:3], v12 offset:2048
.LBB21_334:
	s_delay_alu instid0(VALU_DEP_1)
	s_and_saveexec_b32 s3, s2
	s_cbranch_execnz .LBB21_336
; %bb.335:
	s_endpgm
.LBB21_336:
	s_waitcnt lgkmcnt(0)
	v_lshlrev_b64 v[0:1], 2, v[0:1]
	s_delay_alu instid0(VALU_DEP_1) | instskip(NEXT) | instid1(VALU_DEP_2)
	v_add_co_u32 v0, vcc_lo, s0, v0
	v_add_co_ci_u32_e32 v1, vcc_lo, s1, v1, vcc_lo
	s_delay_alu instid0(VALU_DEP_2) | instskip(NEXT) | instid1(VALU_DEP_2)
	v_add_co_u32 v0, vcc_lo, 0x3000, v0
	v_add_co_ci_u32_e32 v1, vcc_lo, 0, v1, vcc_lo
	flat_store_b32 v[0:1], v38 offset:3072
	s_endpgm
.LBB21_337:
	v_add_nc_u32_e32 v1, -1, v0
	s_delay_alu instid0(VALU_DEP_1) | instskip(NEXT) | instid1(VALU_DEP_1)
	v_lshrrev_b32_e32 v2, 5, v1
	v_add_lshl_u32 v1, v2, v1, 3
	ds_load_b32 v1, v1
	s_or_b32 exec_lo, exec_lo, s16
	s_and_saveexec_b32 s16, s3
	s_cbranch_execz .LBB21_311
.LBB21_338:
	v_dual_mov_b32 v2, 0 :: v_dual_and_b32 v3, 0xff, v36
	;;#ASMSTART
	;;#ASMEND
	s_delay_alu instid0(VALU_DEP_1) | instskip(SKIP_1) | instid1(VALU_DEP_1)
	v_cmp_eq_u64_e64 s3, 0, v[2:3]
	s_waitcnt lgkmcnt(0)
	v_cndmask_b32_e64 v1, 0, v1, s3
	s_delay_alu instid0(VALU_DEP_1) | instskip(NEXT) | instid1(VALU_DEP_1)
	v_add_nc_u32_e32 v35, v1, v35
	v_cndmask_b32_e32 v1, 0, v35, vcc_lo
	s_delay_alu instid0(VALU_DEP_1) | instskip(NEXT) | instid1(VALU_DEP_1)
	v_add_nc_u32_e32 v4, v1, v37
	v_cndmask_b32_e64 v1, 0, v4, s0
	s_delay_alu instid0(VALU_DEP_1) | instskip(NEXT) | instid1(VALU_DEP_1)
	v_add_nc_u32_e32 v5, v1, v39
	v_cndmask_b32_e64 v1, 0, v5, s1
	;; [unrolled: 3-line block ×14, first 2 shown]
	s_delay_alu instid0(VALU_DEP_1)
	v_add_nc_u32_e32 v22, v1, v6
	s_or_b32 exec_lo, exec_lo, s16
	s_and_saveexec_b32 s0, s2
	s_cbranch_execnz .LBB21_312
	s_branch .LBB21_313
.LBB21_339:
	v_add_lshl_u32 v53, v12, v0, 2
	ds_load_b32 v53, v53
	s_waitcnt lgkmcnt(0)
	flat_store_b32 v[2:3], v53
	s_or_b32 exec_lo, exec_lo, s3
	s_delay_alu instid0(SALU_CYCLE_1)
	s_mov_b32 s3, exec_lo
	v_cmpx_gt_u32_e64 s2, v36
	s_cbranch_execz .LBB21_317
.LBB21_340:
	s_waitcnt lgkmcnt(14)
	flat_store_b32 v[2:3], v52 offset:1024
	s_or_b32 exec_lo, exec_lo, s3
	s_delay_alu instid0(SALU_CYCLE_1)
	s_mov_b32 s3, exec_lo
	v_cmpx_gt_u32_e64 s2, v35
	s_cbranch_execz .LBB21_318
.LBB21_341:
	s_waitcnt lgkmcnt(13)
	flat_store_b32 v[2:3], v51 offset:2048
	s_or_b32 exec_lo, exec_lo, s3
	s_delay_alu instid0(SALU_CYCLE_1)
	s_mov_b32 s3, exec_lo
	v_cmpx_gt_u32_e64 s2, v34
	s_cbranch_execz .LBB21_319
.LBB21_342:
	s_waitcnt lgkmcnt(12)
	flat_store_b32 v[2:3], v50 offset:3072
	s_or_b32 exec_lo, exec_lo, s3
	s_delay_alu instid0(SALU_CYCLE_1)
	s_mov_b32 s3, exec_lo
	v_cmpx_gt_u32_e64 s2, v33
	s_cbranch_execz .LBB21_320
.LBB21_343:
	s_waitcnt lgkmcnt(12)
	v_add_co_u32 v50, vcc_lo, 0x1000, v2
	v_add_co_ci_u32_e32 v51, vcc_lo, 0, v3, vcc_lo
	s_waitcnt lgkmcnt(11)
	flat_store_b32 v[50:51], v49
	s_or_b32 exec_lo, exec_lo, s3
	s_delay_alu instid0(SALU_CYCLE_1)
	s_mov_b32 s3, exec_lo
	v_cmpx_gt_u32_e64 s2, v32
	s_cbranch_execz .LBB21_321
.LBB21_344:
	s_waitcnt lgkmcnt(11)
	v_add_co_u32 v49, vcc_lo, 0x1000, v2
	v_add_co_ci_u32_e32 v50, vcc_lo, 0, v3, vcc_lo
	s_waitcnt lgkmcnt(10)
	flat_store_b32 v[49:50], v48 offset:1024
	s_or_b32 exec_lo, exec_lo, s3
	s_delay_alu instid0(SALU_CYCLE_1)
	s_mov_b32 s3, exec_lo
	v_cmpx_gt_u32_e64 s2, v31
	s_cbranch_execz .LBB21_322
.LBB21_345:
	s_waitcnt lgkmcnt(10)
	v_add_co_u32 v48, vcc_lo, 0x1000, v2
	v_add_co_ci_u32_e32 v49, vcc_lo, 0, v3, vcc_lo
	s_waitcnt lgkmcnt(9)
	flat_store_b32 v[48:49], v47 offset:2048
	s_or_b32 exec_lo, exec_lo, s3
	s_delay_alu instid0(SALU_CYCLE_1)
	s_mov_b32 s3, exec_lo
	v_cmpx_gt_u32_e64 s2, v30
	s_cbranch_execz .LBB21_323
.LBB21_346:
	s_waitcnt lgkmcnt(9)
	v_add_co_u32 v47, vcc_lo, 0x1000, v2
	v_add_co_ci_u32_e32 v48, vcc_lo, 0, v3, vcc_lo
	s_waitcnt lgkmcnt(8)
	flat_store_b32 v[47:48], v46 offset:3072
	s_or_b32 exec_lo, exec_lo, s3
	s_delay_alu instid0(SALU_CYCLE_1)
	s_mov_b32 s3, exec_lo
	v_cmpx_gt_u32_e64 s2, v29
	s_cbranch_execz .LBB21_324
.LBB21_347:
	s_waitcnt lgkmcnt(8)
	v_add_co_u32 v46, vcc_lo, 0x2000, v2
	v_add_co_ci_u32_e32 v47, vcc_lo, 0, v3, vcc_lo
	s_waitcnt lgkmcnt(7)
	flat_store_b32 v[46:47], v44
	s_or_b32 exec_lo, exec_lo, s3
	s_delay_alu instid0(SALU_CYCLE_1)
	s_mov_b32 s3, exec_lo
	v_cmpx_gt_u32_e64 s2, v28
	s_cbranch_execz .LBB21_325
.LBB21_348:
	s_waitcnt lgkmcnt(8)
	v_add_co_u32 v46, vcc_lo, 0x2000, v2
	v_add_co_ci_u32_e32 v47, vcc_lo, 0, v3, vcc_lo
	s_waitcnt lgkmcnt(6)
	flat_store_b32 v[46:47], v45 offset:1024
	s_or_b32 exec_lo, exec_lo, s3
	s_delay_alu instid0(SALU_CYCLE_1)
	s_mov_b32 s3, exec_lo
	v_cmpx_gt_u32_e64 s2, v27
	s_cbranch_execz .LBB21_326
.LBB21_349:
	s_waitcnt lgkmcnt(7)
	v_add_co_u32 v44, vcc_lo, 0x2000, v2
	s_waitcnt lgkmcnt(6)
	v_add_co_ci_u32_e32 v45, vcc_lo, 0, v3, vcc_lo
	s_waitcnt lgkmcnt(5)
	flat_store_b32 v[44:45], v43 offset:2048
	s_or_b32 exec_lo, exec_lo, s3
	s_delay_alu instid0(SALU_CYCLE_1)
	s_mov_b32 s3, exec_lo
	v_cmpx_gt_u32_e64 s2, v26
	s_cbranch_execz .LBB21_327
.LBB21_350:
	s_waitcnt lgkmcnt(5)
	v_add_co_u32 v43, vcc_lo, 0x2000, v2
	v_add_co_ci_u32_e32 v44, vcc_lo, 0, v3, vcc_lo
	s_waitcnt lgkmcnt(4)
	flat_store_b32 v[43:44], v42 offset:3072
	s_or_b32 exec_lo, exec_lo, s3
	s_delay_alu instid0(SALU_CYCLE_1)
	s_mov_b32 s3, exec_lo
	v_cmpx_gt_u32_e64 s2, v25
	s_cbranch_execz .LBB21_328
.LBB21_351:
	s_waitcnt lgkmcnt(4)
	v_add_co_u32 v42, vcc_lo, 0x3000, v2
	v_add_co_ci_u32_e32 v43, vcc_lo, 0, v3, vcc_lo
	s_waitcnt lgkmcnt(3)
	flat_store_b32 v[42:43], v41
	s_or_b32 exec_lo, exec_lo, s3
	s_delay_alu instid0(SALU_CYCLE_1)
	s_mov_b32 s3, exec_lo
	v_cmpx_gt_u32_e64 s2, v24
	s_cbranch_execz .LBB21_329
.LBB21_352:
	s_waitcnt lgkmcnt(3)
	v_add_co_u32 v41, vcc_lo, 0x3000, v2
	v_add_co_ci_u32_e32 v42, vcc_lo, 0, v3, vcc_lo
	s_waitcnt lgkmcnt(2)
	flat_store_b32 v[41:42], v40 offset:1024
	s_or_b32 exec_lo, exec_lo, s3
	s_delay_alu instid0(SALU_CYCLE_1)
	s_mov_b32 s3, exec_lo
	v_cmpx_gt_u32_e64 s2, v13
	s_cbranch_execnz .LBB21_330
	s_branch .LBB21_331
.LBB21_353:
                                        ; implicit-def: $vgpr33_vgpr34
	s_branch .LBB21_253
.LBB21_354:
                                        ; implicit-def: $vgpr33_vgpr34
	s_branch .LBB21_112
.LBB21_355:
                                        ; implicit-def: $vgpr33_vgpr34
	s_branch .LBB21_249
	.section	.rodata,"a",@progbits
	.p2align	6, 0x0
	.amdhsa_kernel _ZN7rocprim17ROCPRIM_400000_NS6detail17trampoline_kernelINS0_14default_configENS1_27scan_by_key_config_selectorImiEEZZNS1_16scan_by_key_implILNS1_25lookback_scan_determinismE0ELb0ES3_N6thrust23THRUST_200600_302600_NS18transform_iteratorI9row_indexNS9_17counting_iteratorImNS9_11use_defaultESD_SD_EESD_SD_EENS9_6detail15normal_iteratorINS9_10device_ptrIiEEEESK_iNS9_4plusIvEENS9_8equal_toIvEEiEE10hipError_tPvRmT2_T3_T4_T5_mT6_T7_P12ihipStream_tbENKUlT_T0_E_clISt17integral_constantIbLb1EES15_EEDaS10_S11_EUlS10_E_NS1_11comp_targetILNS1_3genE9ELNS1_11target_archE1100ELNS1_3gpuE3ELNS1_3repE0EEENS1_30default_config_static_selectorELNS0_4arch9wavefront6targetE0EEEvT1_
		.amdhsa_group_segment_fixed_size 37888
		.amdhsa_private_segment_fixed_size 0
		.amdhsa_kernarg_size 120
		.amdhsa_user_sgpr_count 15
		.amdhsa_user_sgpr_dispatch_ptr 0
		.amdhsa_user_sgpr_queue_ptr 0
		.amdhsa_user_sgpr_kernarg_segment_ptr 1
		.amdhsa_user_sgpr_dispatch_id 0
		.amdhsa_user_sgpr_private_segment_size 0
		.amdhsa_wavefront_size32 1
		.amdhsa_uses_dynamic_stack 0
		.amdhsa_enable_private_segment 0
		.amdhsa_system_sgpr_workgroup_id_x 1
		.amdhsa_system_sgpr_workgroup_id_y 0
		.amdhsa_system_sgpr_workgroup_id_z 0
		.amdhsa_system_sgpr_workgroup_info 0
		.amdhsa_system_vgpr_workitem_id 0
		.amdhsa_next_free_vgpr 75
		.amdhsa_next_free_sgpr 60
		.amdhsa_reserve_vcc 1
		.amdhsa_float_round_mode_32 0
		.amdhsa_float_round_mode_16_64 0
		.amdhsa_float_denorm_mode_32 3
		.amdhsa_float_denorm_mode_16_64 3
		.amdhsa_dx10_clamp 1
		.amdhsa_ieee_mode 1
		.amdhsa_fp16_overflow 0
		.amdhsa_workgroup_processor_mode 1
		.amdhsa_memory_ordered 1
		.amdhsa_forward_progress 0
		.amdhsa_shared_vgpr_count 0
		.amdhsa_exception_fp_ieee_invalid_op 0
		.amdhsa_exception_fp_denorm_src 0
		.amdhsa_exception_fp_ieee_div_zero 0
		.amdhsa_exception_fp_ieee_overflow 0
		.amdhsa_exception_fp_ieee_underflow 0
		.amdhsa_exception_fp_ieee_inexact 0
		.amdhsa_exception_int_div_zero 0
	.end_amdhsa_kernel
	.section	.text._ZN7rocprim17ROCPRIM_400000_NS6detail17trampoline_kernelINS0_14default_configENS1_27scan_by_key_config_selectorImiEEZZNS1_16scan_by_key_implILNS1_25lookback_scan_determinismE0ELb0ES3_N6thrust23THRUST_200600_302600_NS18transform_iteratorI9row_indexNS9_17counting_iteratorImNS9_11use_defaultESD_SD_EESD_SD_EENS9_6detail15normal_iteratorINS9_10device_ptrIiEEEESK_iNS9_4plusIvEENS9_8equal_toIvEEiEE10hipError_tPvRmT2_T3_T4_T5_mT6_T7_P12ihipStream_tbENKUlT_T0_E_clISt17integral_constantIbLb1EES15_EEDaS10_S11_EUlS10_E_NS1_11comp_targetILNS1_3genE9ELNS1_11target_archE1100ELNS1_3gpuE3ELNS1_3repE0EEENS1_30default_config_static_selectorELNS0_4arch9wavefront6targetE0EEEvT1_,"axG",@progbits,_ZN7rocprim17ROCPRIM_400000_NS6detail17trampoline_kernelINS0_14default_configENS1_27scan_by_key_config_selectorImiEEZZNS1_16scan_by_key_implILNS1_25lookback_scan_determinismE0ELb0ES3_N6thrust23THRUST_200600_302600_NS18transform_iteratorI9row_indexNS9_17counting_iteratorImNS9_11use_defaultESD_SD_EESD_SD_EENS9_6detail15normal_iteratorINS9_10device_ptrIiEEEESK_iNS9_4plusIvEENS9_8equal_toIvEEiEE10hipError_tPvRmT2_T3_T4_T5_mT6_T7_P12ihipStream_tbENKUlT_T0_E_clISt17integral_constantIbLb1EES15_EEDaS10_S11_EUlS10_E_NS1_11comp_targetILNS1_3genE9ELNS1_11target_archE1100ELNS1_3gpuE3ELNS1_3repE0EEENS1_30default_config_static_selectorELNS0_4arch9wavefront6targetE0EEEvT1_,comdat
.Lfunc_end21:
	.size	_ZN7rocprim17ROCPRIM_400000_NS6detail17trampoline_kernelINS0_14default_configENS1_27scan_by_key_config_selectorImiEEZZNS1_16scan_by_key_implILNS1_25lookback_scan_determinismE0ELb0ES3_N6thrust23THRUST_200600_302600_NS18transform_iteratorI9row_indexNS9_17counting_iteratorImNS9_11use_defaultESD_SD_EESD_SD_EENS9_6detail15normal_iteratorINS9_10device_ptrIiEEEESK_iNS9_4plusIvEENS9_8equal_toIvEEiEE10hipError_tPvRmT2_T3_T4_T5_mT6_T7_P12ihipStream_tbENKUlT_T0_E_clISt17integral_constantIbLb1EES15_EEDaS10_S11_EUlS10_E_NS1_11comp_targetILNS1_3genE9ELNS1_11target_archE1100ELNS1_3gpuE3ELNS1_3repE0EEENS1_30default_config_static_selectorELNS0_4arch9wavefront6targetE0EEEvT1_, .Lfunc_end21-_ZN7rocprim17ROCPRIM_400000_NS6detail17trampoline_kernelINS0_14default_configENS1_27scan_by_key_config_selectorImiEEZZNS1_16scan_by_key_implILNS1_25lookback_scan_determinismE0ELb0ES3_N6thrust23THRUST_200600_302600_NS18transform_iteratorI9row_indexNS9_17counting_iteratorImNS9_11use_defaultESD_SD_EESD_SD_EENS9_6detail15normal_iteratorINS9_10device_ptrIiEEEESK_iNS9_4plusIvEENS9_8equal_toIvEEiEE10hipError_tPvRmT2_T3_T4_T5_mT6_T7_P12ihipStream_tbENKUlT_T0_E_clISt17integral_constantIbLb1EES15_EEDaS10_S11_EUlS10_E_NS1_11comp_targetILNS1_3genE9ELNS1_11target_archE1100ELNS1_3gpuE3ELNS1_3repE0EEENS1_30default_config_static_selectorELNS0_4arch9wavefront6targetE0EEEvT1_
                                        ; -- End function
	.section	.AMDGPU.csdata,"",@progbits
; Kernel info:
; codeLenInByte = 49056
; NumSgprs: 62
; NumVgprs: 75
; ScratchSize: 0
; MemoryBound: 0
; FloatMode: 240
; IeeeMode: 1
; LDSByteSize: 37888 bytes/workgroup (compile time only)
; SGPRBlocks: 7
; VGPRBlocks: 9
; NumSGPRsForWavesPerEU: 62
; NumVGPRsForWavesPerEU: 75
; Occupancy: 6
; WaveLimiterHint : 1
; COMPUTE_PGM_RSRC2:SCRATCH_EN: 0
; COMPUTE_PGM_RSRC2:USER_SGPR: 15
; COMPUTE_PGM_RSRC2:TRAP_HANDLER: 0
; COMPUTE_PGM_RSRC2:TGID_X_EN: 1
; COMPUTE_PGM_RSRC2:TGID_Y_EN: 0
; COMPUTE_PGM_RSRC2:TGID_Z_EN: 0
; COMPUTE_PGM_RSRC2:TIDIG_COMP_CNT: 0
	.section	.text._ZN7rocprim17ROCPRIM_400000_NS6detail17trampoline_kernelINS0_14default_configENS1_27scan_by_key_config_selectorImiEEZZNS1_16scan_by_key_implILNS1_25lookback_scan_determinismE0ELb0ES3_N6thrust23THRUST_200600_302600_NS18transform_iteratorI9row_indexNS9_17counting_iteratorImNS9_11use_defaultESD_SD_EESD_SD_EENS9_6detail15normal_iteratorINS9_10device_ptrIiEEEESK_iNS9_4plusIvEENS9_8equal_toIvEEiEE10hipError_tPvRmT2_T3_T4_T5_mT6_T7_P12ihipStream_tbENKUlT_T0_E_clISt17integral_constantIbLb1EES15_EEDaS10_S11_EUlS10_E_NS1_11comp_targetILNS1_3genE8ELNS1_11target_archE1030ELNS1_3gpuE2ELNS1_3repE0EEENS1_30default_config_static_selectorELNS0_4arch9wavefront6targetE0EEEvT1_,"axG",@progbits,_ZN7rocprim17ROCPRIM_400000_NS6detail17trampoline_kernelINS0_14default_configENS1_27scan_by_key_config_selectorImiEEZZNS1_16scan_by_key_implILNS1_25lookback_scan_determinismE0ELb0ES3_N6thrust23THRUST_200600_302600_NS18transform_iteratorI9row_indexNS9_17counting_iteratorImNS9_11use_defaultESD_SD_EESD_SD_EENS9_6detail15normal_iteratorINS9_10device_ptrIiEEEESK_iNS9_4plusIvEENS9_8equal_toIvEEiEE10hipError_tPvRmT2_T3_T4_T5_mT6_T7_P12ihipStream_tbENKUlT_T0_E_clISt17integral_constantIbLb1EES15_EEDaS10_S11_EUlS10_E_NS1_11comp_targetILNS1_3genE8ELNS1_11target_archE1030ELNS1_3gpuE2ELNS1_3repE0EEENS1_30default_config_static_selectorELNS0_4arch9wavefront6targetE0EEEvT1_,comdat
	.protected	_ZN7rocprim17ROCPRIM_400000_NS6detail17trampoline_kernelINS0_14default_configENS1_27scan_by_key_config_selectorImiEEZZNS1_16scan_by_key_implILNS1_25lookback_scan_determinismE0ELb0ES3_N6thrust23THRUST_200600_302600_NS18transform_iteratorI9row_indexNS9_17counting_iteratorImNS9_11use_defaultESD_SD_EESD_SD_EENS9_6detail15normal_iteratorINS9_10device_ptrIiEEEESK_iNS9_4plusIvEENS9_8equal_toIvEEiEE10hipError_tPvRmT2_T3_T4_T5_mT6_T7_P12ihipStream_tbENKUlT_T0_E_clISt17integral_constantIbLb1EES15_EEDaS10_S11_EUlS10_E_NS1_11comp_targetILNS1_3genE8ELNS1_11target_archE1030ELNS1_3gpuE2ELNS1_3repE0EEENS1_30default_config_static_selectorELNS0_4arch9wavefront6targetE0EEEvT1_ ; -- Begin function _ZN7rocprim17ROCPRIM_400000_NS6detail17trampoline_kernelINS0_14default_configENS1_27scan_by_key_config_selectorImiEEZZNS1_16scan_by_key_implILNS1_25lookback_scan_determinismE0ELb0ES3_N6thrust23THRUST_200600_302600_NS18transform_iteratorI9row_indexNS9_17counting_iteratorImNS9_11use_defaultESD_SD_EESD_SD_EENS9_6detail15normal_iteratorINS9_10device_ptrIiEEEESK_iNS9_4plusIvEENS9_8equal_toIvEEiEE10hipError_tPvRmT2_T3_T4_T5_mT6_T7_P12ihipStream_tbENKUlT_T0_E_clISt17integral_constantIbLb1EES15_EEDaS10_S11_EUlS10_E_NS1_11comp_targetILNS1_3genE8ELNS1_11target_archE1030ELNS1_3gpuE2ELNS1_3repE0EEENS1_30default_config_static_selectorELNS0_4arch9wavefront6targetE0EEEvT1_
	.globl	_ZN7rocprim17ROCPRIM_400000_NS6detail17trampoline_kernelINS0_14default_configENS1_27scan_by_key_config_selectorImiEEZZNS1_16scan_by_key_implILNS1_25lookback_scan_determinismE0ELb0ES3_N6thrust23THRUST_200600_302600_NS18transform_iteratorI9row_indexNS9_17counting_iteratorImNS9_11use_defaultESD_SD_EESD_SD_EENS9_6detail15normal_iteratorINS9_10device_ptrIiEEEESK_iNS9_4plusIvEENS9_8equal_toIvEEiEE10hipError_tPvRmT2_T3_T4_T5_mT6_T7_P12ihipStream_tbENKUlT_T0_E_clISt17integral_constantIbLb1EES15_EEDaS10_S11_EUlS10_E_NS1_11comp_targetILNS1_3genE8ELNS1_11target_archE1030ELNS1_3gpuE2ELNS1_3repE0EEENS1_30default_config_static_selectorELNS0_4arch9wavefront6targetE0EEEvT1_
	.p2align	8
	.type	_ZN7rocprim17ROCPRIM_400000_NS6detail17trampoline_kernelINS0_14default_configENS1_27scan_by_key_config_selectorImiEEZZNS1_16scan_by_key_implILNS1_25lookback_scan_determinismE0ELb0ES3_N6thrust23THRUST_200600_302600_NS18transform_iteratorI9row_indexNS9_17counting_iteratorImNS9_11use_defaultESD_SD_EESD_SD_EENS9_6detail15normal_iteratorINS9_10device_ptrIiEEEESK_iNS9_4plusIvEENS9_8equal_toIvEEiEE10hipError_tPvRmT2_T3_T4_T5_mT6_T7_P12ihipStream_tbENKUlT_T0_E_clISt17integral_constantIbLb1EES15_EEDaS10_S11_EUlS10_E_NS1_11comp_targetILNS1_3genE8ELNS1_11target_archE1030ELNS1_3gpuE2ELNS1_3repE0EEENS1_30default_config_static_selectorELNS0_4arch9wavefront6targetE0EEEvT1_,@function
_ZN7rocprim17ROCPRIM_400000_NS6detail17trampoline_kernelINS0_14default_configENS1_27scan_by_key_config_selectorImiEEZZNS1_16scan_by_key_implILNS1_25lookback_scan_determinismE0ELb0ES3_N6thrust23THRUST_200600_302600_NS18transform_iteratorI9row_indexNS9_17counting_iteratorImNS9_11use_defaultESD_SD_EESD_SD_EENS9_6detail15normal_iteratorINS9_10device_ptrIiEEEESK_iNS9_4plusIvEENS9_8equal_toIvEEiEE10hipError_tPvRmT2_T3_T4_T5_mT6_T7_P12ihipStream_tbENKUlT_T0_E_clISt17integral_constantIbLb1EES15_EEDaS10_S11_EUlS10_E_NS1_11comp_targetILNS1_3genE8ELNS1_11target_archE1030ELNS1_3gpuE2ELNS1_3repE0EEENS1_30default_config_static_selectorELNS0_4arch9wavefront6targetE0EEEvT1_: ; @_ZN7rocprim17ROCPRIM_400000_NS6detail17trampoline_kernelINS0_14default_configENS1_27scan_by_key_config_selectorImiEEZZNS1_16scan_by_key_implILNS1_25lookback_scan_determinismE0ELb0ES3_N6thrust23THRUST_200600_302600_NS18transform_iteratorI9row_indexNS9_17counting_iteratorImNS9_11use_defaultESD_SD_EESD_SD_EENS9_6detail15normal_iteratorINS9_10device_ptrIiEEEESK_iNS9_4plusIvEENS9_8equal_toIvEEiEE10hipError_tPvRmT2_T3_T4_T5_mT6_T7_P12ihipStream_tbENKUlT_T0_E_clISt17integral_constantIbLb1EES15_EEDaS10_S11_EUlS10_E_NS1_11comp_targetILNS1_3genE8ELNS1_11target_archE1030ELNS1_3gpuE2ELNS1_3repE0EEENS1_30default_config_static_selectorELNS0_4arch9wavefront6targetE0EEEvT1_
; %bb.0:
	.section	.rodata,"a",@progbits
	.p2align	6, 0x0
	.amdhsa_kernel _ZN7rocprim17ROCPRIM_400000_NS6detail17trampoline_kernelINS0_14default_configENS1_27scan_by_key_config_selectorImiEEZZNS1_16scan_by_key_implILNS1_25lookback_scan_determinismE0ELb0ES3_N6thrust23THRUST_200600_302600_NS18transform_iteratorI9row_indexNS9_17counting_iteratorImNS9_11use_defaultESD_SD_EESD_SD_EENS9_6detail15normal_iteratorINS9_10device_ptrIiEEEESK_iNS9_4plusIvEENS9_8equal_toIvEEiEE10hipError_tPvRmT2_T3_T4_T5_mT6_T7_P12ihipStream_tbENKUlT_T0_E_clISt17integral_constantIbLb1EES15_EEDaS10_S11_EUlS10_E_NS1_11comp_targetILNS1_3genE8ELNS1_11target_archE1030ELNS1_3gpuE2ELNS1_3repE0EEENS1_30default_config_static_selectorELNS0_4arch9wavefront6targetE0EEEvT1_
		.amdhsa_group_segment_fixed_size 0
		.amdhsa_private_segment_fixed_size 0
		.amdhsa_kernarg_size 120
		.amdhsa_user_sgpr_count 15
		.amdhsa_user_sgpr_dispatch_ptr 0
		.amdhsa_user_sgpr_queue_ptr 0
		.amdhsa_user_sgpr_kernarg_segment_ptr 1
		.amdhsa_user_sgpr_dispatch_id 0
		.amdhsa_user_sgpr_private_segment_size 0
		.amdhsa_wavefront_size32 1
		.amdhsa_uses_dynamic_stack 0
		.amdhsa_enable_private_segment 0
		.amdhsa_system_sgpr_workgroup_id_x 1
		.amdhsa_system_sgpr_workgroup_id_y 0
		.amdhsa_system_sgpr_workgroup_id_z 0
		.amdhsa_system_sgpr_workgroup_info 0
		.amdhsa_system_vgpr_workitem_id 0
		.amdhsa_next_free_vgpr 1
		.amdhsa_next_free_sgpr 1
		.amdhsa_reserve_vcc 0
		.amdhsa_float_round_mode_32 0
		.amdhsa_float_round_mode_16_64 0
		.amdhsa_float_denorm_mode_32 3
		.amdhsa_float_denorm_mode_16_64 3
		.amdhsa_dx10_clamp 1
		.amdhsa_ieee_mode 1
		.amdhsa_fp16_overflow 0
		.amdhsa_workgroup_processor_mode 1
		.amdhsa_memory_ordered 1
		.amdhsa_forward_progress 0
		.amdhsa_shared_vgpr_count 0
		.amdhsa_exception_fp_ieee_invalid_op 0
		.amdhsa_exception_fp_denorm_src 0
		.amdhsa_exception_fp_ieee_div_zero 0
		.amdhsa_exception_fp_ieee_overflow 0
		.amdhsa_exception_fp_ieee_underflow 0
		.amdhsa_exception_fp_ieee_inexact 0
		.amdhsa_exception_int_div_zero 0
	.end_amdhsa_kernel
	.section	.text._ZN7rocprim17ROCPRIM_400000_NS6detail17trampoline_kernelINS0_14default_configENS1_27scan_by_key_config_selectorImiEEZZNS1_16scan_by_key_implILNS1_25lookback_scan_determinismE0ELb0ES3_N6thrust23THRUST_200600_302600_NS18transform_iteratorI9row_indexNS9_17counting_iteratorImNS9_11use_defaultESD_SD_EESD_SD_EENS9_6detail15normal_iteratorINS9_10device_ptrIiEEEESK_iNS9_4plusIvEENS9_8equal_toIvEEiEE10hipError_tPvRmT2_T3_T4_T5_mT6_T7_P12ihipStream_tbENKUlT_T0_E_clISt17integral_constantIbLb1EES15_EEDaS10_S11_EUlS10_E_NS1_11comp_targetILNS1_3genE8ELNS1_11target_archE1030ELNS1_3gpuE2ELNS1_3repE0EEENS1_30default_config_static_selectorELNS0_4arch9wavefront6targetE0EEEvT1_,"axG",@progbits,_ZN7rocprim17ROCPRIM_400000_NS6detail17trampoline_kernelINS0_14default_configENS1_27scan_by_key_config_selectorImiEEZZNS1_16scan_by_key_implILNS1_25lookback_scan_determinismE0ELb0ES3_N6thrust23THRUST_200600_302600_NS18transform_iteratorI9row_indexNS9_17counting_iteratorImNS9_11use_defaultESD_SD_EESD_SD_EENS9_6detail15normal_iteratorINS9_10device_ptrIiEEEESK_iNS9_4plusIvEENS9_8equal_toIvEEiEE10hipError_tPvRmT2_T3_T4_T5_mT6_T7_P12ihipStream_tbENKUlT_T0_E_clISt17integral_constantIbLb1EES15_EEDaS10_S11_EUlS10_E_NS1_11comp_targetILNS1_3genE8ELNS1_11target_archE1030ELNS1_3gpuE2ELNS1_3repE0EEENS1_30default_config_static_selectorELNS0_4arch9wavefront6targetE0EEEvT1_,comdat
.Lfunc_end22:
	.size	_ZN7rocprim17ROCPRIM_400000_NS6detail17trampoline_kernelINS0_14default_configENS1_27scan_by_key_config_selectorImiEEZZNS1_16scan_by_key_implILNS1_25lookback_scan_determinismE0ELb0ES3_N6thrust23THRUST_200600_302600_NS18transform_iteratorI9row_indexNS9_17counting_iteratorImNS9_11use_defaultESD_SD_EESD_SD_EENS9_6detail15normal_iteratorINS9_10device_ptrIiEEEESK_iNS9_4plusIvEENS9_8equal_toIvEEiEE10hipError_tPvRmT2_T3_T4_T5_mT6_T7_P12ihipStream_tbENKUlT_T0_E_clISt17integral_constantIbLb1EES15_EEDaS10_S11_EUlS10_E_NS1_11comp_targetILNS1_3genE8ELNS1_11target_archE1030ELNS1_3gpuE2ELNS1_3repE0EEENS1_30default_config_static_selectorELNS0_4arch9wavefront6targetE0EEEvT1_, .Lfunc_end22-_ZN7rocprim17ROCPRIM_400000_NS6detail17trampoline_kernelINS0_14default_configENS1_27scan_by_key_config_selectorImiEEZZNS1_16scan_by_key_implILNS1_25lookback_scan_determinismE0ELb0ES3_N6thrust23THRUST_200600_302600_NS18transform_iteratorI9row_indexNS9_17counting_iteratorImNS9_11use_defaultESD_SD_EESD_SD_EENS9_6detail15normal_iteratorINS9_10device_ptrIiEEEESK_iNS9_4plusIvEENS9_8equal_toIvEEiEE10hipError_tPvRmT2_T3_T4_T5_mT6_T7_P12ihipStream_tbENKUlT_T0_E_clISt17integral_constantIbLb1EES15_EEDaS10_S11_EUlS10_E_NS1_11comp_targetILNS1_3genE8ELNS1_11target_archE1030ELNS1_3gpuE2ELNS1_3repE0EEENS1_30default_config_static_selectorELNS0_4arch9wavefront6targetE0EEEvT1_
                                        ; -- End function
	.section	.AMDGPU.csdata,"",@progbits
; Kernel info:
; codeLenInByte = 0
; NumSgprs: 0
; NumVgprs: 0
; ScratchSize: 0
; MemoryBound: 0
; FloatMode: 240
; IeeeMode: 1
; LDSByteSize: 0 bytes/workgroup (compile time only)
; SGPRBlocks: 0
; VGPRBlocks: 0
; NumSGPRsForWavesPerEU: 1
; NumVGPRsForWavesPerEU: 1
; Occupancy: 16
; WaveLimiterHint : 0
; COMPUTE_PGM_RSRC2:SCRATCH_EN: 0
; COMPUTE_PGM_RSRC2:USER_SGPR: 15
; COMPUTE_PGM_RSRC2:TRAP_HANDLER: 0
; COMPUTE_PGM_RSRC2:TGID_X_EN: 1
; COMPUTE_PGM_RSRC2:TGID_Y_EN: 0
; COMPUTE_PGM_RSRC2:TGID_Z_EN: 0
; COMPUTE_PGM_RSRC2:TIDIG_COMP_CNT: 0
	.section	.text._ZN7rocprim17ROCPRIM_400000_NS6detail30init_device_scan_by_key_kernelINS1_19lookback_scan_stateINS0_5tupleIJibEEELb1ELb1EEEN6thrust23THRUST_200600_302600_NS18transform_iteratorI9row_indexNS8_17counting_iteratorImNS8_11use_defaultESC_SC_EESC_SC_EEjNS1_16block_id_wrapperIjLb0EEEEEvT_jjPNSH_10value_typeET0_PNSt15iterator_traitsISK_E10value_typeEmT1_T2_,"axG",@progbits,_ZN7rocprim17ROCPRIM_400000_NS6detail30init_device_scan_by_key_kernelINS1_19lookback_scan_stateINS0_5tupleIJibEEELb1ELb1EEEN6thrust23THRUST_200600_302600_NS18transform_iteratorI9row_indexNS8_17counting_iteratorImNS8_11use_defaultESC_SC_EESC_SC_EEjNS1_16block_id_wrapperIjLb0EEEEEvT_jjPNSH_10value_typeET0_PNSt15iterator_traitsISK_E10value_typeEmT1_T2_,comdat
	.protected	_ZN7rocprim17ROCPRIM_400000_NS6detail30init_device_scan_by_key_kernelINS1_19lookback_scan_stateINS0_5tupleIJibEEELb1ELb1EEEN6thrust23THRUST_200600_302600_NS18transform_iteratorI9row_indexNS8_17counting_iteratorImNS8_11use_defaultESC_SC_EESC_SC_EEjNS1_16block_id_wrapperIjLb0EEEEEvT_jjPNSH_10value_typeET0_PNSt15iterator_traitsISK_E10value_typeEmT1_T2_ ; -- Begin function _ZN7rocprim17ROCPRIM_400000_NS6detail30init_device_scan_by_key_kernelINS1_19lookback_scan_stateINS0_5tupleIJibEEELb1ELb1EEEN6thrust23THRUST_200600_302600_NS18transform_iteratorI9row_indexNS8_17counting_iteratorImNS8_11use_defaultESC_SC_EESC_SC_EEjNS1_16block_id_wrapperIjLb0EEEEEvT_jjPNSH_10value_typeET0_PNSt15iterator_traitsISK_E10value_typeEmT1_T2_
	.globl	_ZN7rocprim17ROCPRIM_400000_NS6detail30init_device_scan_by_key_kernelINS1_19lookback_scan_stateINS0_5tupleIJibEEELb1ELb1EEEN6thrust23THRUST_200600_302600_NS18transform_iteratorI9row_indexNS8_17counting_iteratorImNS8_11use_defaultESC_SC_EESC_SC_EEjNS1_16block_id_wrapperIjLb0EEEEEvT_jjPNSH_10value_typeET0_PNSt15iterator_traitsISK_E10value_typeEmT1_T2_
	.p2align	8
	.type	_ZN7rocprim17ROCPRIM_400000_NS6detail30init_device_scan_by_key_kernelINS1_19lookback_scan_stateINS0_5tupleIJibEEELb1ELb1EEEN6thrust23THRUST_200600_302600_NS18transform_iteratorI9row_indexNS8_17counting_iteratorImNS8_11use_defaultESC_SC_EESC_SC_EEjNS1_16block_id_wrapperIjLb0EEEEEvT_jjPNSH_10value_typeET0_PNSt15iterator_traitsISK_E10value_typeEmT1_T2_,@function
_ZN7rocprim17ROCPRIM_400000_NS6detail30init_device_scan_by_key_kernelINS1_19lookback_scan_stateINS0_5tupleIJibEEELb1ELb1EEEN6thrust23THRUST_200600_302600_NS18transform_iteratorI9row_indexNS8_17counting_iteratorImNS8_11use_defaultESC_SC_EESC_SC_EEjNS1_16block_id_wrapperIjLb0EEEEEvT_jjPNSH_10value_typeET0_PNSt15iterator_traitsISK_E10value_typeEmT1_T2_: ; @_ZN7rocprim17ROCPRIM_400000_NS6detail30init_device_scan_by_key_kernelINS1_19lookback_scan_stateINS0_5tupleIJibEEELb1ELb1EEEN6thrust23THRUST_200600_302600_NS18transform_iteratorI9row_indexNS8_17counting_iteratorImNS8_11use_defaultESC_SC_EESC_SC_EEjNS1_16block_id_wrapperIjLb0EEEEEvT_jjPNSH_10value_typeET0_PNSt15iterator_traitsISK_E10value_typeEmT1_T2_
; %bb.0:
	s_clause 0x2
	s_load_b32 s2, s[0:1], 0x4c
	s_load_b256 s[4:11], s[0:1], 0x0
	s_load_b32 s12, s[0:1], 0x40
	s_waitcnt lgkmcnt(0)
	s_and_b32 s13, s2, 0xffff
	s_cmp_eq_u64 s[8:9], 0
	v_mad_u64_u32 v[4:5], null, s15, s13, v[0:1]
	s_cbranch_scc1 .LBB23_10
; %bb.1:
	s_cmp_lt_u32 s7, s6
	s_mov_b32 s3, 0
	s_cselect_b32 s2, s7, 0
	s_mov_b32 s14, exec_lo
	s_delay_alu instid0(VALU_DEP_1)
	v_cmpx_eq_u32_e64 s2, v4
	s_cbranch_execz .LBB23_9
; %bb.2:
	s_add_i32 s2, s7, 32
	s_mov_b32 s7, exec_lo
	s_lshl_b64 s[2:3], s[2:3], 4
	v_mov_b32_e32 v6, 0
	s_add_u32 s2, s4, s2
	s_addc_u32 s3, s5, s3
	s_delay_alu instid0(SALU_CYCLE_1) | instskip(SKIP_2) | instid1(VALU_DEP_1)
	v_dual_mov_b32 v0, s2 :: v_dual_mov_b32 v1, s3
	;;#ASMSTART
	global_load_dwordx4 v[0:3], v[0:1] off glc	
s_waitcnt vmcnt(0)
	;;#ASMEND
	v_and_b32_e32 v5, 0xff, v2
	v_cmpx_eq_u64_e32 0, v[5:6]
	s_cbranch_execz .LBB23_8
; %bb.3:
	v_dual_mov_b32 v8, s3 :: v_dual_mov_b32 v7, s2
	s_mov_b32 s3, 1
	s_mov_b32 s2, 0
	.p2align	6
.LBB23_4:                               ; =>This Loop Header: Depth=1
                                        ;     Child Loop BB23_5 Depth 2
	s_max_u32 s15, s3, 1
.LBB23_5:                               ;   Parent Loop BB23_4 Depth=1
                                        ; =>  This Inner Loop Header: Depth=2
	s_delay_alu instid0(SALU_CYCLE_1)
	s_add_i32 s15, s15, -1
	s_sleep 1
	s_cmp_eq_u32 s15, 0
	s_cbranch_scc0 .LBB23_5
; %bb.6:                                ;   in Loop: Header=BB23_4 Depth=1
	;;#ASMSTART
	global_load_dwordx4 v[0:3], v[7:8] off glc	
s_waitcnt vmcnt(0)
	;;#ASMEND
	v_and_b32_e32 v5, 0xff, v2
	s_cmp_lt_u32 s3, 32
	s_cselect_b32 s15, -1, 0
	s_delay_alu instid0(VALU_DEP_1) | instskip(SKIP_3) | instid1(SALU_CYCLE_1)
	v_cmp_ne_u64_e32 vcc_lo, 0, v[5:6]
	s_cmp_lg_u32 s15, 0
	s_addc_u32 s3, s3, 0
	s_or_b32 s2, vcc_lo, s2
	s_and_not1_b32 exec_lo, exec_lo, s2
	s_cbranch_execnz .LBB23_4
; %bb.7:
	s_or_b32 exec_lo, exec_lo, s2
.LBB23_8:
	s_delay_alu instid0(SALU_CYCLE_1)
	s_or_b32 exec_lo, exec_lo, s7
	v_mov_b32_e32 v2, 0
	s_clause 0x1
	global_store_b32 v2, v0, s[8:9]
	global_store_b8 v2, v1, s[8:9] offset:4
.LBB23_9:
	s_or_b32 exec_lo, exec_lo, s14
.LBB23_10:
	s_delay_alu instid0(SALU_CYCLE_1) | instskip(NEXT) | instid1(VALU_DEP_1)
	s_mov_b32 s2, exec_lo
	v_cmpx_gt_u32_e64 s6, v4
	s_cbranch_execz .LBB23_12
; %bb.11:
	v_dual_mov_b32 v1, 0 :: v_dual_add_nc_u32 v0, 32, v4
	s_delay_alu instid0(VALU_DEP_1) | instskip(SKIP_3) | instid1(VALU_DEP_4)
	v_lshlrev_b64 v[5:6], 4, v[0:1]
	v_mov_b32_e32 v0, v1
	v_mov_b32_e32 v2, v1
	;; [unrolled: 1-line block ×3, first 2 shown]
	v_add_co_u32 v5, vcc_lo, s4, v5
	v_add_co_ci_u32_e32 v6, vcc_lo, s5, v6, vcc_lo
	global_store_b128 v[5:6], v[0:3], off
.LBB23_12:
	s_or_b32 exec_lo, exec_lo, s2
	v_mov_b32_e32 v5, 0
	s_mov_b32 s2, exec_lo
	v_cmpx_gt_u32_e32 32, v4
	s_cbranch_execz .LBB23_14
; %bb.13:
	s_delay_alu instid0(VALU_DEP_2) | instskip(SKIP_3) | instid1(VALU_DEP_4)
	v_lshlrev_b64 v[6:7], 4, v[4:5]
	v_dual_mov_b32 v2, 0xff :: v_dual_mov_b32 v1, v5
	v_mov_b32_e32 v0, v5
	v_mov_b32_e32 v3, v5
	v_add_co_u32 v6, vcc_lo, s4, v6
	v_add_co_ci_u32_e32 v7, vcc_lo, s5, v7, vcc_lo
	global_store_b128 v[6:7], v[0:3], off
.LBB23_14:
	s_or_b32 exec_lo, exec_lo, s2
	s_load_b64 s[2:3], s[0:1], 0x30
	s_mov_b32 s4, exec_lo
	s_waitcnt lgkmcnt(0)
	v_cmpx_gt_u64_e64 s[2:3], v[4:5]
	s_cbranch_execz .LBB23_21
; %bb.15:
	s_clause 0x1
	s_load_b128 s[4:7], s[0:1], 0x20
	s_load_b32 s14, s[0:1], 0x38
	s_mov_b32 s9, 0
	s_waitcnt lgkmcnt(0)
	v_cvt_f32_u32_e32 v0, s4
	v_cvt_f32_u32_e32 v1, s5
	;; [unrolled: 1-line block ×3, first 2 shown]
	s_add_i32 s0, s14, -1
	s_delay_alu instid0(SALU_CYCLE_1) | instskip(NEXT) | instid1(VALU_DEP_2)
	s_add_u32 s0, s0, s10
	v_fmamk_f32 v0, v1, 0x4f800000, v0
	s_delay_alu instid0(VALU_DEP_2) | instskip(SKIP_4) | instid1(VALU_DEP_1)
	v_rcp_iflag_f32_e32 v1, v2
	s_addc_u32 s1, 0, s11
	s_sub_i32 s8, 0, s4
	v_lshlrev_b64 v[2:3], 3, v[4:5]
	v_rcp_f32_e32 v0, v0
	v_add_co_u32 v2, vcc_lo, s6, v2
	s_waitcnt_depctr 0xfff
	v_mul_f32_e32 v1, 0x4f7ffffe, v1
	v_add_co_ci_u32_e32 v3, vcc_lo, s7, v3, vcc_lo
	v_mul_f32_e32 v6, 0x5f7ffffc, v0
	s_delay_alu instid0(VALU_DEP_1) | instskip(NEXT) | instid1(VALU_DEP_1)
	v_mul_f32_e32 v0, 0x2f800000, v6
	v_trunc_f32_e32 v8, v0
	v_mov_b32_e32 v0, 0
	v_cvt_u32_f32_e32 v1, v1
	s_delay_alu instid0(VALU_DEP_3) | instskip(SKIP_1) | instid1(VALU_DEP_3)
	v_fmamk_f32 v10, v8, 0xcf800000, v6
	v_cvt_u32_f32_e32 v11, v8
	v_mul_lo_u32 v7, s8, v1
	s_mul_i32 s8, s12, s13
	s_delay_alu instid0(VALU_DEP_3) | instskip(SKIP_2) | instid1(VALU_DEP_2)
	v_cvt_u32_f32_e32 v10, v10
	s_mul_i32 s10, s14, s8
	s_lshl_b64 s[6:7], s[8:9], 3
	v_mul_hi_u32 v9, v1, v7
	v_mad_u64_u32 v[6:7], null, s14, v4, s[0:1]
	s_mul_hi_u32 s1, s14, s8
	s_delay_alu instid0(VALU_DEP_2)
	v_add_nc_u32_e32 v12, v1, v9
	s_branch .LBB23_17
.LBB23_16:                              ;   in Loop: Header=BB23_17 Depth=1
	s_or_b32 exec_lo, exec_lo, s0
	v_add_co_u32 v4, vcc_lo, v4, s8
	v_add_co_ci_u32_e32 v5, vcc_lo, 0, v5, vcc_lo
	v_add_co_u32 v6, vcc_lo, v6, s10
	v_add_co_ci_u32_e32 v7, vcc_lo, s1, v7, vcc_lo
	s_delay_alu instid0(VALU_DEP_3) | instskip(SKIP_2) | instid1(VALU_DEP_1)
	v_cmp_le_u64_e32 vcc_lo, s[2:3], v[4:5]
	global_store_b64 v[2:3], v[8:9], off
	v_add_co_u32 v2, s0, v2, s6
	v_add_co_ci_u32_e64 v3, s0, s7, v3, s0
	s_or_b32 s9, vcc_lo, s9
	s_delay_alu instid0(SALU_CYCLE_1)
	s_and_not1_b32 exec_lo, exec_lo, s9
	s_cbranch_execz .LBB23_21
.LBB23_17:                              ; =>This Inner Loop Header: Depth=1
	s_delay_alu instid0(VALU_DEP_2) | instskip(SKIP_1) | instid1(VALU_DEP_1)
	v_or_b32_e32 v1, s5, v7
                                        ; implicit-def: $vgpr8_vgpr9
	s_mov_b32 s0, exec_lo
	v_cmpx_ne_u64_e32 0, v[0:1]
	s_xor_b32 s11, exec_lo, s0
	s_cbranch_execz .LBB23_19
; %bb.18:                               ;   in Loop: Header=BB23_17 Depth=1
	s_sub_u32 s0, 0, s4
	s_subb_u32 s12, 0, s5
	v_mul_hi_u32 v1, s0, v10
	v_mul_lo_u32 v8, s0, v11
	v_mul_lo_u32 v9, s12, v10
	s_delay_alu instid0(VALU_DEP_2) | instskip(SKIP_1) | instid1(VALU_DEP_2)
	v_add_nc_u32_e32 v1, v1, v8
	v_mul_lo_u32 v8, s0, v10
	v_add_nc_u32_e32 v1, v1, v9
	s_delay_alu instid0(VALU_DEP_2) | instskip(NEXT) | instid1(VALU_DEP_2)
	v_mul_hi_u32 v9, v10, v8
	v_mul_lo_u32 v13, v10, v1
	v_mul_hi_u32 v14, v10, v1
	v_mul_hi_u32 v15, v11, v8
	v_mul_lo_u32 v8, v11, v8
	v_mul_hi_u32 v16, v11, v1
	v_mul_lo_u32 v1, v11, v1
	v_add_co_u32 v9, vcc_lo, v9, v13
	v_add_co_ci_u32_e32 v13, vcc_lo, 0, v14, vcc_lo
	s_delay_alu instid0(VALU_DEP_2) | instskip(NEXT) | instid1(VALU_DEP_2)
	v_add_co_u32 v8, vcc_lo, v9, v8
	v_add_co_ci_u32_e32 v8, vcc_lo, v13, v15, vcc_lo
	v_add_co_ci_u32_e32 v9, vcc_lo, 0, v16, vcc_lo
	s_delay_alu instid0(VALU_DEP_2) | instskip(NEXT) | instid1(VALU_DEP_2)
	v_add_co_u32 v1, vcc_lo, v8, v1
	v_add_co_ci_u32_e32 v8, vcc_lo, 0, v9, vcc_lo
	s_delay_alu instid0(VALU_DEP_2) | instskip(NEXT) | instid1(VALU_DEP_2)
	v_add_co_u32 v1, vcc_lo, v10, v1
	v_add_co_ci_u32_e32 v8, vcc_lo, v11, v8, vcc_lo
	s_delay_alu instid0(VALU_DEP_2) | instskip(SKIP_1) | instid1(VALU_DEP_3)
	v_mul_hi_u32 v9, s0, v1
	v_mul_lo_u32 v14, s12, v1
	v_mul_lo_u32 v13, s0, v8
	s_delay_alu instid0(VALU_DEP_1) | instskip(SKIP_1) | instid1(VALU_DEP_2)
	v_add_nc_u32_e32 v9, v9, v13
	v_mul_lo_u32 v13, s0, v1
	v_add_nc_u32_e32 v9, v9, v14
	s_delay_alu instid0(VALU_DEP_2) | instskip(NEXT) | instid1(VALU_DEP_2)
	v_mul_hi_u32 v14, v1, v13
	v_mul_lo_u32 v15, v1, v9
	v_mul_hi_u32 v16, v1, v9
	v_mul_hi_u32 v17, v8, v13
	v_mul_lo_u32 v13, v8, v13
	v_mul_hi_u32 v18, v8, v9
	v_mul_lo_u32 v9, v8, v9
	v_add_co_u32 v14, vcc_lo, v14, v15
	v_add_co_ci_u32_e32 v15, vcc_lo, 0, v16, vcc_lo
	s_delay_alu instid0(VALU_DEP_2) | instskip(NEXT) | instid1(VALU_DEP_2)
	v_add_co_u32 v13, vcc_lo, v14, v13
	v_add_co_ci_u32_e32 v13, vcc_lo, v15, v17, vcc_lo
	v_add_co_ci_u32_e32 v14, vcc_lo, 0, v18, vcc_lo
	s_delay_alu instid0(VALU_DEP_2) | instskip(NEXT) | instid1(VALU_DEP_2)
	v_add_co_u32 v9, vcc_lo, v13, v9
	v_add_co_ci_u32_e32 v13, vcc_lo, 0, v14, vcc_lo
	s_delay_alu instid0(VALU_DEP_2) | instskip(NEXT) | instid1(VALU_DEP_2)
	v_add_co_u32 v1, vcc_lo, v1, v9
	v_add_co_ci_u32_e32 v17, vcc_lo, v8, v13, vcc_lo
	s_delay_alu instid0(VALU_DEP_2) | instskip(SKIP_1) | instid1(VALU_DEP_3)
	v_mul_hi_u32 v18, v6, v1
	v_mad_u64_u32 v[13:14], null, v7, v1, 0
	v_mad_u64_u32 v[8:9], null, v6, v17, 0
	;; [unrolled: 1-line block ×3, first 2 shown]
	s_delay_alu instid0(VALU_DEP_2) | instskip(NEXT) | instid1(VALU_DEP_3)
	v_add_co_u32 v1, vcc_lo, v18, v8
	v_add_co_ci_u32_e32 v8, vcc_lo, 0, v9, vcc_lo
	s_delay_alu instid0(VALU_DEP_2) | instskip(NEXT) | instid1(VALU_DEP_2)
	v_add_co_u32 v1, vcc_lo, v1, v13
	v_add_co_ci_u32_e32 v1, vcc_lo, v8, v14, vcc_lo
	v_add_co_ci_u32_e32 v8, vcc_lo, 0, v16, vcc_lo
	s_delay_alu instid0(VALU_DEP_2) | instskip(NEXT) | instid1(VALU_DEP_2)
	v_add_co_u32 v1, vcc_lo, v1, v15
	v_add_co_ci_u32_e32 v13, vcc_lo, 0, v8, vcc_lo
	s_delay_alu instid0(VALU_DEP_2) | instskip(SKIP_1) | instid1(VALU_DEP_3)
	v_mul_lo_u32 v14, s5, v1
	v_mad_u64_u32 v[8:9], null, s4, v1, 0
	v_mul_lo_u32 v15, s4, v13
	s_delay_alu instid0(VALU_DEP_2) | instskip(NEXT) | instid1(VALU_DEP_2)
	v_sub_co_u32 v8, vcc_lo, v6, v8
	v_add3_u32 v9, v9, v15, v14
	s_delay_alu instid0(VALU_DEP_1) | instskip(NEXT) | instid1(VALU_DEP_1)
	v_sub_nc_u32_e32 v14, v7, v9
	v_subrev_co_ci_u32_e64 v14, s0, s5, v14, vcc_lo
	v_add_co_u32 v15, s0, v1, 2
	s_delay_alu instid0(VALU_DEP_1) | instskip(SKIP_3) | instid1(VALU_DEP_3)
	v_add_co_ci_u32_e64 v16, s0, 0, v13, s0
	v_sub_co_u32 v17, s0, v8, s4
	v_sub_co_ci_u32_e32 v9, vcc_lo, v7, v9, vcc_lo
	v_subrev_co_ci_u32_e64 v14, s0, 0, v14, s0
	v_cmp_le_u32_e32 vcc_lo, s4, v17
	s_delay_alu instid0(VALU_DEP_3) | instskip(SKIP_1) | instid1(VALU_DEP_4)
	v_cmp_eq_u32_e64 s0, s5, v9
	v_cndmask_b32_e64 v17, 0, -1, vcc_lo
	v_cmp_le_u32_e32 vcc_lo, s5, v14
	v_cndmask_b32_e64 v18, 0, -1, vcc_lo
	v_cmp_le_u32_e32 vcc_lo, s4, v8
	;; [unrolled: 2-line block ×3, first 2 shown]
	v_cndmask_b32_e64 v19, 0, -1, vcc_lo
	v_cmp_eq_u32_e32 vcc_lo, s5, v14
	s_delay_alu instid0(VALU_DEP_2) | instskip(SKIP_3) | instid1(VALU_DEP_3)
	v_cndmask_b32_e64 v8, v19, v8, s0
	v_cndmask_b32_e32 v14, v18, v17, vcc_lo
	v_add_co_u32 v17, vcc_lo, v1, 1
	v_add_co_ci_u32_e32 v18, vcc_lo, 0, v13, vcc_lo
	v_cmp_ne_u32_e32 vcc_lo, 0, v14
	s_delay_alu instid0(VALU_DEP_2) | instskip(SKIP_1) | instid1(VALU_DEP_2)
	v_dual_cndmask_b32 v9, v18, v16 :: v_dual_cndmask_b32 v14, v17, v15
	v_cmp_ne_u32_e32 vcc_lo, 0, v8
	v_cndmask_b32_e32 v9, v13, v9, vcc_lo
	s_delay_alu instid0(VALU_DEP_3)
	v_cndmask_b32_e32 v8, v1, v14, vcc_lo
.LBB23_19:                              ;   in Loop: Header=BB23_17 Depth=1
	s_and_not1_saveexec_b32 s0, s11
	s_cbranch_execz .LBB23_16
; %bb.20:                               ;   in Loop: Header=BB23_17 Depth=1
	v_mul_hi_u32 v1, v6, v12
	s_delay_alu instid0(VALU_DEP_1) | instskip(SKIP_1) | instid1(VALU_DEP_2)
	v_mul_lo_u32 v8, v1, s4
	v_add_nc_u32_e32 v9, 1, v1
	v_sub_nc_u32_e32 v8, v6, v8
	s_delay_alu instid0(VALU_DEP_1) | instskip(SKIP_1) | instid1(VALU_DEP_2)
	v_subrev_nc_u32_e32 v13, s4, v8
	v_cmp_le_u32_e32 vcc_lo, s4, v8
	v_cndmask_b32_e32 v8, v8, v13, vcc_lo
	v_cndmask_b32_e32 v1, v1, v9, vcc_lo
	s_delay_alu instid0(VALU_DEP_2) | instskip(NEXT) | instid1(VALU_DEP_2)
	v_cmp_le_u32_e32 vcc_lo, s4, v8
	v_add_nc_u32_e32 v9, 1, v1
	s_delay_alu instid0(VALU_DEP_1)
	v_dual_cndmask_b32 v8, v1, v9 :: v_dual_mov_b32 v9, v0
	s_branch .LBB23_16
.LBB23_21:
	s_nop 0
	s_sendmsg sendmsg(MSG_DEALLOC_VGPRS)
	s_endpgm
	.section	.rodata,"a",@progbits
	.p2align	6, 0x0
	.amdhsa_kernel _ZN7rocprim17ROCPRIM_400000_NS6detail30init_device_scan_by_key_kernelINS1_19lookback_scan_stateINS0_5tupleIJibEEELb1ELb1EEEN6thrust23THRUST_200600_302600_NS18transform_iteratorI9row_indexNS8_17counting_iteratorImNS8_11use_defaultESC_SC_EESC_SC_EEjNS1_16block_id_wrapperIjLb0EEEEEvT_jjPNSH_10value_typeET0_PNSt15iterator_traitsISK_E10value_typeEmT1_T2_
		.amdhsa_group_segment_fixed_size 0
		.amdhsa_private_segment_fixed_size 0
		.amdhsa_kernarg_size 320
		.amdhsa_user_sgpr_count 15
		.amdhsa_user_sgpr_dispatch_ptr 0
		.amdhsa_user_sgpr_queue_ptr 0
		.amdhsa_user_sgpr_kernarg_segment_ptr 1
		.amdhsa_user_sgpr_dispatch_id 0
		.amdhsa_user_sgpr_private_segment_size 0
		.amdhsa_wavefront_size32 1
		.amdhsa_uses_dynamic_stack 0
		.amdhsa_enable_private_segment 0
		.amdhsa_system_sgpr_workgroup_id_x 1
		.amdhsa_system_sgpr_workgroup_id_y 0
		.amdhsa_system_sgpr_workgroup_id_z 0
		.amdhsa_system_sgpr_workgroup_info 0
		.amdhsa_system_vgpr_workitem_id 0
		.amdhsa_next_free_vgpr 20
		.amdhsa_next_free_sgpr 16
		.amdhsa_reserve_vcc 1
		.amdhsa_float_round_mode_32 0
		.amdhsa_float_round_mode_16_64 0
		.amdhsa_float_denorm_mode_32 3
		.amdhsa_float_denorm_mode_16_64 3
		.amdhsa_dx10_clamp 1
		.amdhsa_ieee_mode 1
		.amdhsa_fp16_overflow 0
		.amdhsa_workgroup_processor_mode 1
		.amdhsa_memory_ordered 1
		.amdhsa_forward_progress 0
		.amdhsa_shared_vgpr_count 0
		.amdhsa_exception_fp_ieee_invalid_op 0
		.amdhsa_exception_fp_denorm_src 0
		.amdhsa_exception_fp_ieee_div_zero 0
		.amdhsa_exception_fp_ieee_overflow 0
		.amdhsa_exception_fp_ieee_underflow 0
		.amdhsa_exception_fp_ieee_inexact 0
		.amdhsa_exception_int_div_zero 0
	.end_amdhsa_kernel
	.section	.text._ZN7rocprim17ROCPRIM_400000_NS6detail30init_device_scan_by_key_kernelINS1_19lookback_scan_stateINS0_5tupleIJibEEELb1ELb1EEEN6thrust23THRUST_200600_302600_NS18transform_iteratorI9row_indexNS8_17counting_iteratorImNS8_11use_defaultESC_SC_EESC_SC_EEjNS1_16block_id_wrapperIjLb0EEEEEvT_jjPNSH_10value_typeET0_PNSt15iterator_traitsISK_E10value_typeEmT1_T2_,"axG",@progbits,_ZN7rocprim17ROCPRIM_400000_NS6detail30init_device_scan_by_key_kernelINS1_19lookback_scan_stateINS0_5tupleIJibEEELb1ELb1EEEN6thrust23THRUST_200600_302600_NS18transform_iteratorI9row_indexNS8_17counting_iteratorImNS8_11use_defaultESC_SC_EESC_SC_EEjNS1_16block_id_wrapperIjLb0EEEEEvT_jjPNSH_10value_typeET0_PNSt15iterator_traitsISK_E10value_typeEmT1_T2_,comdat
.Lfunc_end23:
	.size	_ZN7rocprim17ROCPRIM_400000_NS6detail30init_device_scan_by_key_kernelINS1_19lookback_scan_stateINS0_5tupleIJibEEELb1ELb1EEEN6thrust23THRUST_200600_302600_NS18transform_iteratorI9row_indexNS8_17counting_iteratorImNS8_11use_defaultESC_SC_EESC_SC_EEjNS1_16block_id_wrapperIjLb0EEEEEvT_jjPNSH_10value_typeET0_PNSt15iterator_traitsISK_E10value_typeEmT1_T2_, .Lfunc_end23-_ZN7rocprim17ROCPRIM_400000_NS6detail30init_device_scan_by_key_kernelINS1_19lookback_scan_stateINS0_5tupleIJibEEELb1ELb1EEEN6thrust23THRUST_200600_302600_NS18transform_iteratorI9row_indexNS8_17counting_iteratorImNS8_11use_defaultESC_SC_EESC_SC_EEjNS1_16block_id_wrapperIjLb0EEEEEvT_jjPNSH_10value_typeET0_PNSt15iterator_traitsISK_E10value_typeEmT1_T2_
                                        ; -- End function
	.section	.AMDGPU.csdata,"",@progbits
; Kernel info:
; codeLenInByte = 1600
; NumSgprs: 18
; NumVgprs: 20
; ScratchSize: 0
; MemoryBound: 0
; FloatMode: 240
; IeeeMode: 1
; LDSByteSize: 0 bytes/workgroup (compile time only)
; SGPRBlocks: 2
; VGPRBlocks: 2
; NumSGPRsForWavesPerEU: 18
; NumVGPRsForWavesPerEU: 20
; Occupancy: 16
; WaveLimiterHint : 0
; COMPUTE_PGM_RSRC2:SCRATCH_EN: 0
; COMPUTE_PGM_RSRC2:USER_SGPR: 15
; COMPUTE_PGM_RSRC2:TRAP_HANDLER: 0
; COMPUTE_PGM_RSRC2:TGID_X_EN: 1
; COMPUTE_PGM_RSRC2:TGID_Y_EN: 0
; COMPUTE_PGM_RSRC2:TGID_Z_EN: 0
; COMPUTE_PGM_RSRC2:TIDIG_COMP_CNT: 0
	.section	.text._ZN7rocprim17ROCPRIM_400000_NS6detail30init_device_scan_by_key_kernelINS1_19lookback_scan_stateINS0_5tupleIJibEEELb1ELb1EEENS1_16block_id_wrapperIjLb0EEEEEvT_jjPNS9_10value_typeET0_,"axG",@progbits,_ZN7rocprim17ROCPRIM_400000_NS6detail30init_device_scan_by_key_kernelINS1_19lookback_scan_stateINS0_5tupleIJibEEELb1ELb1EEENS1_16block_id_wrapperIjLb0EEEEEvT_jjPNS9_10value_typeET0_,comdat
	.protected	_ZN7rocprim17ROCPRIM_400000_NS6detail30init_device_scan_by_key_kernelINS1_19lookback_scan_stateINS0_5tupleIJibEEELb1ELb1EEENS1_16block_id_wrapperIjLb0EEEEEvT_jjPNS9_10value_typeET0_ ; -- Begin function _ZN7rocprim17ROCPRIM_400000_NS6detail30init_device_scan_by_key_kernelINS1_19lookback_scan_stateINS0_5tupleIJibEEELb1ELb1EEENS1_16block_id_wrapperIjLb0EEEEEvT_jjPNS9_10value_typeET0_
	.globl	_ZN7rocprim17ROCPRIM_400000_NS6detail30init_device_scan_by_key_kernelINS1_19lookback_scan_stateINS0_5tupleIJibEEELb1ELb1EEENS1_16block_id_wrapperIjLb0EEEEEvT_jjPNS9_10value_typeET0_
	.p2align	8
	.type	_ZN7rocprim17ROCPRIM_400000_NS6detail30init_device_scan_by_key_kernelINS1_19lookback_scan_stateINS0_5tupleIJibEEELb1ELb1EEENS1_16block_id_wrapperIjLb0EEEEEvT_jjPNS9_10value_typeET0_,@function
_ZN7rocprim17ROCPRIM_400000_NS6detail30init_device_scan_by_key_kernelINS1_19lookback_scan_stateINS0_5tupleIJibEEELb1ELb1EEENS1_16block_id_wrapperIjLb0EEEEEvT_jjPNS9_10value_typeET0_: ; @_ZN7rocprim17ROCPRIM_400000_NS6detail30init_device_scan_by_key_kernelINS1_19lookback_scan_stateINS0_5tupleIJibEEELb1ELb1EEENS1_16block_id_wrapperIjLb0EEEEEvT_jjPNS9_10value_typeET0_
; %bb.0:
	s_clause 0x2
	s_load_b32 s6, s[0:1], 0x2c
	s_load_b64 s[4:5], s[0:1], 0x10
	s_load_b128 s[0:3], s[0:1], 0x0
	s_waitcnt lgkmcnt(0)
	s_and_b32 s6, s6, 0xffff
	s_cmp_eq_u64 s[4:5], 0
	v_mad_u64_u32 v[1:2], null, s15, s6, v[0:1]
	s_cbranch_scc1 .LBB24_10
; %bb.1:
	s_cmp_lt_u32 s3, s2
	s_mov_b32 s7, 0
	s_cselect_b32 s6, s3, 0
	s_mov_b32 s8, exec_lo
	s_delay_alu instid0(VALU_DEP_1)
	v_cmpx_eq_u32_e64 s6, v1
	s_cbranch_execz .LBB24_9
; %bb.2:
	s_add_i32 s6, s3, 32
	s_mov_b32 s3, exec_lo
	s_lshl_b64 s[6:7], s[6:7], 4
	v_mov_b32_e32 v6, 0
	s_add_u32 s6, s0, s6
	s_addc_u32 s7, s1, s7
	s_delay_alu instid0(SALU_CYCLE_1) | instskip(SKIP_2) | instid1(VALU_DEP_1)
	v_dual_mov_b32 v2, s6 :: v_dual_mov_b32 v3, s7
	;;#ASMSTART
	global_load_dwordx4 v[2:5], v[2:3] off glc	
s_waitcnt vmcnt(0)
	;;#ASMEND
	v_and_b32_e32 v5, 0xff, v4
	v_cmpx_eq_u64_e32 0, v[5:6]
	s_cbranch_execz .LBB24_8
; %bb.3:
	v_dual_mov_b32 v8, s7 :: v_dual_mov_b32 v7, s6
	s_mov_b32 s7, 1
	s_mov_b32 s6, 0
	.p2align	6
.LBB24_4:                               ; =>This Loop Header: Depth=1
                                        ;     Child Loop BB24_5 Depth 2
	s_max_u32 s9, s7, 1
.LBB24_5:                               ;   Parent Loop BB24_4 Depth=1
                                        ; =>  This Inner Loop Header: Depth=2
	s_delay_alu instid0(SALU_CYCLE_1)
	s_add_i32 s9, s9, -1
	s_sleep 1
	s_cmp_eq_u32 s9, 0
	s_cbranch_scc0 .LBB24_5
; %bb.6:                                ;   in Loop: Header=BB24_4 Depth=1
	;;#ASMSTART
	global_load_dwordx4 v[2:5], v[7:8] off glc	
s_waitcnt vmcnt(0)
	;;#ASMEND
	v_and_b32_e32 v5, 0xff, v4
	s_cmp_lt_u32 s7, 32
	s_cselect_b32 s9, -1, 0
	s_delay_alu instid0(SALU_CYCLE_1) | instskip(NEXT) | instid1(VALU_DEP_1)
	s_cmp_lg_u32 s9, 0
	v_cmp_ne_u64_e32 vcc_lo, 0, v[5:6]
	s_addc_u32 s7, s7, 0
	s_or_b32 s6, vcc_lo, s6
	s_delay_alu instid0(SALU_CYCLE_1)
	s_and_not1_b32 exec_lo, exec_lo, s6
	s_cbranch_execnz .LBB24_4
; %bb.7:
	s_or_b32 exec_lo, exec_lo, s6
.LBB24_8:
	s_delay_alu instid0(SALU_CYCLE_1)
	s_or_b32 exec_lo, exec_lo, s3
	v_mov_b32_e32 v0, 0
	s_clause 0x1
	global_store_b32 v0, v2, s[4:5]
	global_store_b8 v0, v3, s[4:5] offset:4
.LBB24_9:
	s_or_b32 exec_lo, exec_lo, s8
.LBB24_10:
	s_delay_alu instid0(VALU_DEP_1)
	v_cmp_gt_u32_e32 vcc_lo, s2, v1
	s_and_saveexec_b32 s2, vcc_lo
	s_cbranch_execz .LBB24_12
; %bb.11:
	v_dual_mov_b32 v3, 0 :: v_dual_add_nc_u32 v2, 32, v1
	s_delay_alu instid0(VALU_DEP_1) | instskip(SKIP_2) | instid1(VALU_DEP_3)
	v_lshlrev_b64 v[5:6], 4, v[2:3]
	v_mov_b32_e32 v2, v3
	v_mov_b32_e32 v4, v3
	v_add_co_u32 v7, vcc_lo, s0, v5
	s_delay_alu instid0(VALU_DEP_4)
	v_add_co_ci_u32_e32 v8, vcc_lo, s1, v6, vcc_lo
	v_mov_b32_e32 v5, v3
	global_store_b128 v[7:8], v[2:5], off
.LBB24_12:
	s_or_b32 exec_lo, exec_lo, s2
	s_delay_alu instid0(SALU_CYCLE_1)
	s_mov_b32 s2, exec_lo
	v_cmpx_gt_u32_e32 32, v1
	s_cbranch_execz .LBB24_14
; %bb.13:
	v_dual_mov_b32 v2, 0 :: v_dual_mov_b32 v3, 0xff
	s_delay_alu instid0(VALU_DEP_1) | instskip(SKIP_1) | instid1(VALU_DEP_2)
	v_lshlrev_b64 v[4:5], 4, v[1:2]
	v_mov_b32_e32 v1, v2
	v_add_co_u32 v6, vcc_lo, s0, v4
	s_delay_alu instid0(VALU_DEP_3)
	v_add_co_ci_u32_e32 v7, vcc_lo, s1, v5, vcc_lo
	v_mov_b32_e32 v4, v2
	global_store_b128 v[6:7], v[1:4], off
.LBB24_14:
	s_nop 0
	s_sendmsg sendmsg(MSG_DEALLOC_VGPRS)
	s_endpgm
	.section	.rodata,"a",@progbits
	.p2align	6, 0x0
	.amdhsa_kernel _ZN7rocprim17ROCPRIM_400000_NS6detail30init_device_scan_by_key_kernelINS1_19lookback_scan_stateINS0_5tupleIJibEEELb1ELb1EEENS1_16block_id_wrapperIjLb0EEEEEvT_jjPNS9_10value_typeET0_
		.amdhsa_group_segment_fixed_size 0
		.amdhsa_private_segment_fixed_size 0
		.amdhsa_kernarg_size 288
		.amdhsa_user_sgpr_count 15
		.amdhsa_user_sgpr_dispatch_ptr 0
		.amdhsa_user_sgpr_queue_ptr 0
		.amdhsa_user_sgpr_kernarg_segment_ptr 1
		.amdhsa_user_sgpr_dispatch_id 0
		.amdhsa_user_sgpr_private_segment_size 0
		.amdhsa_wavefront_size32 1
		.amdhsa_uses_dynamic_stack 0
		.amdhsa_enable_private_segment 0
		.amdhsa_system_sgpr_workgroup_id_x 1
		.amdhsa_system_sgpr_workgroup_id_y 0
		.amdhsa_system_sgpr_workgroup_id_z 0
		.amdhsa_system_sgpr_workgroup_info 0
		.amdhsa_system_vgpr_workitem_id 0
		.amdhsa_next_free_vgpr 9
		.amdhsa_next_free_sgpr 16
		.amdhsa_reserve_vcc 1
		.amdhsa_float_round_mode_32 0
		.amdhsa_float_round_mode_16_64 0
		.amdhsa_float_denorm_mode_32 3
		.amdhsa_float_denorm_mode_16_64 3
		.amdhsa_dx10_clamp 1
		.amdhsa_ieee_mode 1
		.amdhsa_fp16_overflow 0
		.amdhsa_workgroup_processor_mode 1
		.amdhsa_memory_ordered 1
		.amdhsa_forward_progress 0
		.amdhsa_shared_vgpr_count 0
		.amdhsa_exception_fp_ieee_invalid_op 0
		.amdhsa_exception_fp_denorm_src 0
		.amdhsa_exception_fp_ieee_div_zero 0
		.amdhsa_exception_fp_ieee_overflow 0
		.amdhsa_exception_fp_ieee_underflow 0
		.amdhsa_exception_fp_ieee_inexact 0
		.amdhsa_exception_int_div_zero 0
	.end_amdhsa_kernel
	.section	.text._ZN7rocprim17ROCPRIM_400000_NS6detail30init_device_scan_by_key_kernelINS1_19lookback_scan_stateINS0_5tupleIJibEEELb1ELb1EEENS1_16block_id_wrapperIjLb0EEEEEvT_jjPNS9_10value_typeET0_,"axG",@progbits,_ZN7rocprim17ROCPRIM_400000_NS6detail30init_device_scan_by_key_kernelINS1_19lookback_scan_stateINS0_5tupleIJibEEELb1ELb1EEENS1_16block_id_wrapperIjLb0EEEEEvT_jjPNS9_10value_typeET0_,comdat
.Lfunc_end24:
	.size	_ZN7rocprim17ROCPRIM_400000_NS6detail30init_device_scan_by_key_kernelINS1_19lookback_scan_stateINS0_5tupleIJibEEELb1ELb1EEENS1_16block_id_wrapperIjLb0EEEEEvT_jjPNS9_10value_typeET0_, .Lfunc_end24-_ZN7rocprim17ROCPRIM_400000_NS6detail30init_device_scan_by_key_kernelINS1_19lookback_scan_stateINS0_5tupleIJibEEELb1ELb1EEENS1_16block_id_wrapperIjLb0EEEEEvT_jjPNS9_10value_typeET0_
                                        ; -- End function
	.section	.AMDGPU.csdata,"",@progbits
; Kernel info:
; codeLenInByte = 508
; NumSgprs: 18
; NumVgprs: 9
; ScratchSize: 0
; MemoryBound: 0
; FloatMode: 240
; IeeeMode: 1
; LDSByteSize: 0 bytes/workgroup (compile time only)
; SGPRBlocks: 2
; VGPRBlocks: 1
; NumSGPRsForWavesPerEU: 18
; NumVGPRsForWavesPerEU: 9
; Occupancy: 16
; WaveLimiterHint : 0
; COMPUTE_PGM_RSRC2:SCRATCH_EN: 0
; COMPUTE_PGM_RSRC2:USER_SGPR: 15
; COMPUTE_PGM_RSRC2:TRAP_HANDLER: 0
; COMPUTE_PGM_RSRC2:TGID_X_EN: 1
; COMPUTE_PGM_RSRC2:TGID_Y_EN: 0
; COMPUTE_PGM_RSRC2:TGID_Z_EN: 0
; COMPUTE_PGM_RSRC2:TIDIG_COMP_CNT: 0
	.section	.text._ZN7rocprim17ROCPRIM_400000_NS6detail17trampoline_kernelINS0_14default_configENS1_27scan_by_key_config_selectorImiEEZZNS1_16scan_by_key_implILNS1_25lookback_scan_determinismE0ELb0ES3_N6thrust23THRUST_200600_302600_NS18transform_iteratorI9row_indexNS9_17counting_iteratorImNS9_11use_defaultESD_SD_EESD_SD_EENS9_6detail15normal_iteratorINS9_10device_ptrIiEEEESK_iNS9_4plusIvEENS9_8equal_toIvEEiEE10hipError_tPvRmT2_T3_T4_T5_mT6_T7_P12ihipStream_tbENKUlT_T0_E_clISt17integral_constantIbLb1EES14_IbLb0EEEEDaS10_S11_EUlS10_E_NS1_11comp_targetILNS1_3genE0ELNS1_11target_archE4294967295ELNS1_3gpuE0ELNS1_3repE0EEENS1_30default_config_static_selectorELNS0_4arch9wavefront6targetE0EEEvT1_,"axG",@progbits,_ZN7rocprim17ROCPRIM_400000_NS6detail17trampoline_kernelINS0_14default_configENS1_27scan_by_key_config_selectorImiEEZZNS1_16scan_by_key_implILNS1_25lookback_scan_determinismE0ELb0ES3_N6thrust23THRUST_200600_302600_NS18transform_iteratorI9row_indexNS9_17counting_iteratorImNS9_11use_defaultESD_SD_EESD_SD_EENS9_6detail15normal_iteratorINS9_10device_ptrIiEEEESK_iNS9_4plusIvEENS9_8equal_toIvEEiEE10hipError_tPvRmT2_T3_T4_T5_mT6_T7_P12ihipStream_tbENKUlT_T0_E_clISt17integral_constantIbLb1EES14_IbLb0EEEEDaS10_S11_EUlS10_E_NS1_11comp_targetILNS1_3genE0ELNS1_11target_archE4294967295ELNS1_3gpuE0ELNS1_3repE0EEENS1_30default_config_static_selectorELNS0_4arch9wavefront6targetE0EEEvT1_,comdat
	.protected	_ZN7rocprim17ROCPRIM_400000_NS6detail17trampoline_kernelINS0_14default_configENS1_27scan_by_key_config_selectorImiEEZZNS1_16scan_by_key_implILNS1_25lookback_scan_determinismE0ELb0ES3_N6thrust23THRUST_200600_302600_NS18transform_iteratorI9row_indexNS9_17counting_iteratorImNS9_11use_defaultESD_SD_EESD_SD_EENS9_6detail15normal_iteratorINS9_10device_ptrIiEEEESK_iNS9_4plusIvEENS9_8equal_toIvEEiEE10hipError_tPvRmT2_T3_T4_T5_mT6_T7_P12ihipStream_tbENKUlT_T0_E_clISt17integral_constantIbLb1EES14_IbLb0EEEEDaS10_S11_EUlS10_E_NS1_11comp_targetILNS1_3genE0ELNS1_11target_archE4294967295ELNS1_3gpuE0ELNS1_3repE0EEENS1_30default_config_static_selectorELNS0_4arch9wavefront6targetE0EEEvT1_ ; -- Begin function _ZN7rocprim17ROCPRIM_400000_NS6detail17trampoline_kernelINS0_14default_configENS1_27scan_by_key_config_selectorImiEEZZNS1_16scan_by_key_implILNS1_25lookback_scan_determinismE0ELb0ES3_N6thrust23THRUST_200600_302600_NS18transform_iteratorI9row_indexNS9_17counting_iteratorImNS9_11use_defaultESD_SD_EESD_SD_EENS9_6detail15normal_iteratorINS9_10device_ptrIiEEEESK_iNS9_4plusIvEENS9_8equal_toIvEEiEE10hipError_tPvRmT2_T3_T4_T5_mT6_T7_P12ihipStream_tbENKUlT_T0_E_clISt17integral_constantIbLb1EES14_IbLb0EEEEDaS10_S11_EUlS10_E_NS1_11comp_targetILNS1_3genE0ELNS1_11target_archE4294967295ELNS1_3gpuE0ELNS1_3repE0EEENS1_30default_config_static_selectorELNS0_4arch9wavefront6targetE0EEEvT1_
	.globl	_ZN7rocprim17ROCPRIM_400000_NS6detail17trampoline_kernelINS0_14default_configENS1_27scan_by_key_config_selectorImiEEZZNS1_16scan_by_key_implILNS1_25lookback_scan_determinismE0ELb0ES3_N6thrust23THRUST_200600_302600_NS18transform_iteratorI9row_indexNS9_17counting_iteratorImNS9_11use_defaultESD_SD_EESD_SD_EENS9_6detail15normal_iteratorINS9_10device_ptrIiEEEESK_iNS9_4plusIvEENS9_8equal_toIvEEiEE10hipError_tPvRmT2_T3_T4_T5_mT6_T7_P12ihipStream_tbENKUlT_T0_E_clISt17integral_constantIbLb1EES14_IbLb0EEEEDaS10_S11_EUlS10_E_NS1_11comp_targetILNS1_3genE0ELNS1_11target_archE4294967295ELNS1_3gpuE0ELNS1_3repE0EEENS1_30default_config_static_selectorELNS0_4arch9wavefront6targetE0EEEvT1_
	.p2align	8
	.type	_ZN7rocprim17ROCPRIM_400000_NS6detail17trampoline_kernelINS0_14default_configENS1_27scan_by_key_config_selectorImiEEZZNS1_16scan_by_key_implILNS1_25lookback_scan_determinismE0ELb0ES3_N6thrust23THRUST_200600_302600_NS18transform_iteratorI9row_indexNS9_17counting_iteratorImNS9_11use_defaultESD_SD_EESD_SD_EENS9_6detail15normal_iteratorINS9_10device_ptrIiEEEESK_iNS9_4plusIvEENS9_8equal_toIvEEiEE10hipError_tPvRmT2_T3_T4_T5_mT6_T7_P12ihipStream_tbENKUlT_T0_E_clISt17integral_constantIbLb1EES14_IbLb0EEEEDaS10_S11_EUlS10_E_NS1_11comp_targetILNS1_3genE0ELNS1_11target_archE4294967295ELNS1_3gpuE0ELNS1_3repE0EEENS1_30default_config_static_selectorELNS0_4arch9wavefront6targetE0EEEvT1_,@function
_ZN7rocprim17ROCPRIM_400000_NS6detail17trampoline_kernelINS0_14default_configENS1_27scan_by_key_config_selectorImiEEZZNS1_16scan_by_key_implILNS1_25lookback_scan_determinismE0ELb0ES3_N6thrust23THRUST_200600_302600_NS18transform_iteratorI9row_indexNS9_17counting_iteratorImNS9_11use_defaultESD_SD_EESD_SD_EENS9_6detail15normal_iteratorINS9_10device_ptrIiEEEESK_iNS9_4plusIvEENS9_8equal_toIvEEiEE10hipError_tPvRmT2_T3_T4_T5_mT6_T7_P12ihipStream_tbENKUlT_T0_E_clISt17integral_constantIbLb1EES14_IbLb0EEEEDaS10_S11_EUlS10_E_NS1_11comp_targetILNS1_3genE0ELNS1_11target_archE4294967295ELNS1_3gpuE0ELNS1_3repE0EEENS1_30default_config_static_selectorELNS0_4arch9wavefront6targetE0EEEvT1_: ; @_ZN7rocprim17ROCPRIM_400000_NS6detail17trampoline_kernelINS0_14default_configENS1_27scan_by_key_config_selectorImiEEZZNS1_16scan_by_key_implILNS1_25lookback_scan_determinismE0ELb0ES3_N6thrust23THRUST_200600_302600_NS18transform_iteratorI9row_indexNS9_17counting_iteratorImNS9_11use_defaultESD_SD_EESD_SD_EENS9_6detail15normal_iteratorINS9_10device_ptrIiEEEESK_iNS9_4plusIvEENS9_8equal_toIvEEiEE10hipError_tPvRmT2_T3_T4_T5_mT6_T7_P12ihipStream_tbENKUlT_T0_E_clISt17integral_constantIbLb1EES14_IbLb0EEEEDaS10_S11_EUlS10_E_NS1_11comp_targetILNS1_3genE0ELNS1_11target_archE4294967295ELNS1_3gpuE0ELNS1_3repE0EEENS1_30default_config_static_selectorELNS0_4arch9wavefront6targetE0EEEvT1_
; %bb.0:
	.section	.rodata,"a",@progbits
	.p2align	6, 0x0
	.amdhsa_kernel _ZN7rocprim17ROCPRIM_400000_NS6detail17trampoline_kernelINS0_14default_configENS1_27scan_by_key_config_selectorImiEEZZNS1_16scan_by_key_implILNS1_25lookback_scan_determinismE0ELb0ES3_N6thrust23THRUST_200600_302600_NS18transform_iteratorI9row_indexNS9_17counting_iteratorImNS9_11use_defaultESD_SD_EESD_SD_EENS9_6detail15normal_iteratorINS9_10device_ptrIiEEEESK_iNS9_4plusIvEENS9_8equal_toIvEEiEE10hipError_tPvRmT2_T3_T4_T5_mT6_T7_P12ihipStream_tbENKUlT_T0_E_clISt17integral_constantIbLb1EES14_IbLb0EEEEDaS10_S11_EUlS10_E_NS1_11comp_targetILNS1_3genE0ELNS1_11target_archE4294967295ELNS1_3gpuE0ELNS1_3repE0EEENS1_30default_config_static_selectorELNS0_4arch9wavefront6targetE0EEEvT1_
		.amdhsa_group_segment_fixed_size 0
		.amdhsa_private_segment_fixed_size 0
		.amdhsa_kernarg_size 120
		.amdhsa_user_sgpr_count 15
		.amdhsa_user_sgpr_dispatch_ptr 0
		.amdhsa_user_sgpr_queue_ptr 0
		.amdhsa_user_sgpr_kernarg_segment_ptr 1
		.amdhsa_user_sgpr_dispatch_id 0
		.amdhsa_user_sgpr_private_segment_size 0
		.amdhsa_wavefront_size32 1
		.amdhsa_uses_dynamic_stack 0
		.amdhsa_enable_private_segment 0
		.amdhsa_system_sgpr_workgroup_id_x 1
		.amdhsa_system_sgpr_workgroup_id_y 0
		.amdhsa_system_sgpr_workgroup_id_z 0
		.amdhsa_system_sgpr_workgroup_info 0
		.amdhsa_system_vgpr_workitem_id 0
		.amdhsa_next_free_vgpr 1
		.amdhsa_next_free_sgpr 1
		.amdhsa_reserve_vcc 0
		.amdhsa_float_round_mode_32 0
		.amdhsa_float_round_mode_16_64 0
		.amdhsa_float_denorm_mode_32 3
		.amdhsa_float_denorm_mode_16_64 3
		.amdhsa_dx10_clamp 1
		.amdhsa_ieee_mode 1
		.amdhsa_fp16_overflow 0
		.amdhsa_workgroup_processor_mode 1
		.amdhsa_memory_ordered 1
		.amdhsa_forward_progress 0
		.amdhsa_shared_vgpr_count 0
		.amdhsa_exception_fp_ieee_invalid_op 0
		.amdhsa_exception_fp_denorm_src 0
		.amdhsa_exception_fp_ieee_div_zero 0
		.amdhsa_exception_fp_ieee_overflow 0
		.amdhsa_exception_fp_ieee_underflow 0
		.amdhsa_exception_fp_ieee_inexact 0
		.amdhsa_exception_int_div_zero 0
	.end_amdhsa_kernel
	.section	.text._ZN7rocprim17ROCPRIM_400000_NS6detail17trampoline_kernelINS0_14default_configENS1_27scan_by_key_config_selectorImiEEZZNS1_16scan_by_key_implILNS1_25lookback_scan_determinismE0ELb0ES3_N6thrust23THRUST_200600_302600_NS18transform_iteratorI9row_indexNS9_17counting_iteratorImNS9_11use_defaultESD_SD_EESD_SD_EENS9_6detail15normal_iteratorINS9_10device_ptrIiEEEESK_iNS9_4plusIvEENS9_8equal_toIvEEiEE10hipError_tPvRmT2_T3_T4_T5_mT6_T7_P12ihipStream_tbENKUlT_T0_E_clISt17integral_constantIbLb1EES14_IbLb0EEEEDaS10_S11_EUlS10_E_NS1_11comp_targetILNS1_3genE0ELNS1_11target_archE4294967295ELNS1_3gpuE0ELNS1_3repE0EEENS1_30default_config_static_selectorELNS0_4arch9wavefront6targetE0EEEvT1_,"axG",@progbits,_ZN7rocprim17ROCPRIM_400000_NS6detail17trampoline_kernelINS0_14default_configENS1_27scan_by_key_config_selectorImiEEZZNS1_16scan_by_key_implILNS1_25lookback_scan_determinismE0ELb0ES3_N6thrust23THRUST_200600_302600_NS18transform_iteratorI9row_indexNS9_17counting_iteratorImNS9_11use_defaultESD_SD_EESD_SD_EENS9_6detail15normal_iteratorINS9_10device_ptrIiEEEESK_iNS9_4plusIvEENS9_8equal_toIvEEiEE10hipError_tPvRmT2_T3_T4_T5_mT6_T7_P12ihipStream_tbENKUlT_T0_E_clISt17integral_constantIbLb1EES14_IbLb0EEEEDaS10_S11_EUlS10_E_NS1_11comp_targetILNS1_3genE0ELNS1_11target_archE4294967295ELNS1_3gpuE0ELNS1_3repE0EEENS1_30default_config_static_selectorELNS0_4arch9wavefront6targetE0EEEvT1_,comdat
.Lfunc_end25:
	.size	_ZN7rocprim17ROCPRIM_400000_NS6detail17trampoline_kernelINS0_14default_configENS1_27scan_by_key_config_selectorImiEEZZNS1_16scan_by_key_implILNS1_25lookback_scan_determinismE0ELb0ES3_N6thrust23THRUST_200600_302600_NS18transform_iteratorI9row_indexNS9_17counting_iteratorImNS9_11use_defaultESD_SD_EESD_SD_EENS9_6detail15normal_iteratorINS9_10device_ptrIiEEEESK_iNS9_4plusIvEENS9_8equal_toIvEEiEE10hipError_tPvRmT2_T3_T4_T5_mT6_T7_P12ihipStream_tbENKUlT_T0_E_clISt17integral_constantIbLb1EES14_IbLb0EEEEDaS10_S11_EUlS10_E_NS1_11comp_targetILNS1_3genE0ELNS1_11target_archE4294967295ELNS1_3gpuE0ELNS1_3repE0EEENS1_30default_config_static_selectorELNS0_4arch9wavefront6targetE0EEEvT1_, .Lfunc_end25-_ZN7rocprim17ROCPRIM_400000_NS6detail17trampoline_kernelINS0_14default_configENS1_27scan_by_key_config_selectorImiEEZZNS1_16scan_by_key_implILNS1_25lookback_scan_determinismE0ELb0ES3_N6thrust23THRUST_200600_302600_NS18transform_iteratorI9row_indexNS9_17counting_iteratorImNS9_11use_defaultESD_SD_EESD_SD_EENS9_6detail15normal_iteratorINS9_10device_ptrIiEEEESK_iNS9_4plusIvEENS9_8equal_toIvEEiEE10hipError_tPvRmT2_T3_T4_T5_mT6_T7_P12ihipStream_tbENKUlT_T0_E_clISt17integral_constantIbLb1EES14_IbLb0EEEEDaS10_S11_EUlS10_E_NS1_11comp_targetILNS1_3genE0ELNS1_11target_archE4294967295ELNS1_3gpuE0ELNS1_3repE0EEENS1_30default_config_static_selectorELNS0_4arch9wavefront6targetE0EEEvT1_
                                        ; -- End function
	.section	.AMDGPU.csdata,"",@progbits
; Kernel info:
; codeLenInByte = 0
; NumSgprs: 0
; NumVgprs: 0
; ScratchSize: 0
; MemoryBound: 0
; FloatMode: 240
; IeeeMode: 1
; LDSByteSize: 0 bytes/workgroup (compile time only)
; SGPRBlocks: 0
; VGPRBlocks: 0
; NumSGPRsForWavesPerEU: 1
; NumVGPRsForWavesPerEU: 1
; Occupancy: 16
; WaveLimiterHint : 0
; COMPUTE_PGM_RSRC2:SCRATCH_EN: 0
; COMPUTE_PGM_RSRC2:USER_SGPR: 15
; COMPUTE_PGM_RSRC2:TRAP_HANDLER: 0
; COMPUTE_PGM_RSRC2:TGID_X_EN: 1
; COMPUTE_PGM_RSRC2:TGID_Y_EN: 0
; COMPUTE_PGM_RSRC2:TGID_Z_EN: 0
; COMPUTE_PGM_RSRC2:TIDIG_COMP_CNT: 0
	.section	.text._ZN7rocprim17ROCPRIM_400000_NS6detail17trampoline_kernelINS0_14default_configENS1_27scan_by_key_config_selectorImiEEZZNS1_16scan_by_key_implILNS1_25lookback_scan_determinismE0ELb0ES3_N6thrust23THRUST_200600_302600_NS18transform_iteratorI9row_indexNS9_17counting_iteratorImNS9_11use_defaultESD_SD_EESD_SD_EENS9_6detail15normal_iteratorINS9_10device_ptrIiEEEESK_iNS9_4plusIvEENS9_8equal_toIvEEiEE10hipError_tPvRmT2_T3_T4_T5_mT6_T7_P12ihipStream_tbENKUlT_T0_E_clISt17integral_constantIbLb1EES14_IbLb0EEEEDaS10_S11_EUlS10_E_NS1_11comp_targetILNS1_3genE10ELNS1_11target_archE1201ELNS1_3gpuE5ELNS1_3repE0EEENS1_30default_config_static_selectorELNS0_4arch9wavefront6targetE0EEEvT1_,"axG",@progbits,_ZN7rocprim17ROCPRIM_400000_NS6detail17trampoline_kernelINS0_14default_configENS1_27scan_by_key_config_selectorImiEEZZNS1_16scan_by_key_implILNS1_25lookback_scan_determinismE0ELb0ES3_N6thrust23THRUST_200600_302600_NS18transform_iteratorI9row_indexNS9_17counting_iteratorImNS9_11use_defaultESD_SD_EESD_SD_EENS9_6detail15normal_iteratorINS9_10device_ptrIiEEEESK_iNS9_4plusIvEENS9_8equal_toIvEEiEE10hipError_tPvRmT2_T3_T4_T5_mT6_T7_P12ihipStream_tbENKUlT_T0_E_clISt17integral_constantIbLb1EES14_IbLb0EEEEDaS10_S11_EUlS10_E_NS1_11comp_targetILNS1_3genE10ELNS1_11target_archE1201ELNS1_3gpuE5ELNS1_3repE0EEENS1_30default_config_static_selectorELNS0_4arch9wavefront6targetE0EEEvT1_,comdat
	.protected	_ZN7rocprim17ROCPRIM_400000_NS6detail17trampoline_kernelINS0_14default_configENS1_27scan_by_key_config_selectorImiEEZZNS1_16scan_by_key_implILNS1_25lookback_scan_determinismE0ELb0ES3_N6thrust23THRUST_200600_302600_NS18transform_iteratorI9row_indexNS9_17counting_iteratorImNS9_11use_defaultESD_SD_EESD_SD_EENS9_6detail15normal_iteratorINS9_10device_ptrIiEEEESK_iNS9_4plusIvEENS9_8equal_toIvEEiEE10hipError_tPvRmT2_T3_T4_T5_mT6_T7_P12ihipStream_tbENKUlT_T0_E_clISt17integral_constantIbLb1EES14_IbLb0EEEEDaS10_S11_EUlS10_E_NS1_11comp_targetILNS1_3genE10ELNS1_11target_archE1201ELNS1_3gpuE5ELNS1_3repE0EEENS1_30default_config_static_selectorELNS0_4arch9wavefront6targetE0EEEvT1_ ; -- Begin function _ZN7rocprim17ROCPRIM_400000_NS6detail17trampoline_kernelINS0_14default_configENS1_27scan_by_key_config_selectorImiEEZZNS1_16scan_by_key_implILNS1_25lookback_scan_determinismE0ELb0ES3_N6thrust23THRUST_200600_302600_NS18transform_iteratorI9row_indexNS9_17counting_iteratorImNS9_11use_defaultESD_SD_EESD_SD_EENS9_6detail15normal_iteratorINS9_10device_ptrIiEEEESK_iNS9_4plusIvEENS9_8equal_toIvEEiEE10hipError_tPvRmT2_T3_T4_T5_mT6_T7_P12ihipStream_tbENKUlT_T0_E_clISt17integral_constantIbLb1EES14_IbLb0EEEEDaS10_S11_EUlS10_E_NS1_11comp_targetILNS1_3genE10ELNS1_11target_archE1201ELNS1_3gpuE5ELNS1_3repE0EEENS1_30default_config_static_selectorELNS0_4arch9wavefront6targetE0EEEvT1_
	.globl	_ZN7rocprim17ROCPRIM_400000_NS6detail17trampoline_kernelINS0_14default_configENS1_27scan_by_key_config_selectorImiEEZZNS1_16scan_by_key_implILNS1_25lookback_scan_determinismE0ELb0ES3_N6thrust23THRUST_200600_302600_NS18transform_iteratorI9row_indexNS9_17counting_iteratorImNS9_11use_defaultESD_SD_EESD_SD_EENS9_6detail15normal_iteratorINS9_10device_ptrIiEEEESK_iNS9_4plusIvEENS9_8equal_toIvEEiEE10hipError_tPvRmT2_T3_T4_T5_mT6_T7_P12ihipStream_tbENKUlT_T0_E_clISt17integral_constantIbLb1EES14_IbLb0EEEEDaS10_S11_EUlS10_E_NS1_11comp_targetILNS1_3genE10ELNS1_11target_archE1201ELNS1_3gpuE5ELNS1_3repE0EEENS1_30default_config_static_selectorELNS0_4arch9wavefront6targetE0EEEvT1_
	.p2align	8
	.type	_ZN7rocprim17ROCPRIM_400000_NS6detail17trampoline_kernelINS0_14default_configENS1_27scan_by_key_config_selectorImiEEZZNS1_16scan_by_key_implILNS1_25lookback_scan_determinismE0ELb0ES3_N6thrust23THRUST_200600_302600_NS18transform_iteratorI9row_indexNS9_17counting_iteratorImNS9_11use_defaultESD_SD_EESD_SD_EENS9_6detail15normal_iteratorINS9_10device_ptrIiEEEESK_iNS9_4plusIvEENS9_8equal_toIvEEiEE10hipError_tPvRmT2_T3_T4_T5_mT6_T7_P12ihipStream_tbENKUlT_T0_E_clISt17integral_constantIbLb1EES14_IbLb0EEEEDaS10_S11_EUlS10_E_NS1_11comp_targetILNS1_3genE10ELNS1_11target_archE1201ELNS1_3gpuE5ELNS1_3repE0EEENS1_30default_config_static_selectorELNS0_4arch9wavefront6targetE0EEEvT1_,@function
_ZN7rocprim17ROCPRIM_400000_NS6detail17trampoline_kernelINS0_14default_configENS1_27scan_by_key_config_selectorImiEEZZNS1_16scan_by_key_implILNS1_25lookback_scan_determinismE0ELb0ES3_N6thrust23THRUST_200600_302600_NS18transform_iteratorI9row_indexNS9_17counting_iteratorImNS9_11use_defaultESD_SD_EESD_SD_EENS9_6detail15normal_iteratorINS9_10device_ptrIiEEEESK_iNS9_4plusIvEENS9_8equal_toIvEEiEE10hipError_tPvRmT2_T3_T4_T5_mT6_T7_P12ihipStream_tbENKUlT_T0_E_clISt17integral_constantIbLb1EES14_IbLb0EEEEDaS10_S11_EUlS10_E_NS1_11comp_targetILNS1_3genE10ELNS1_11target_archE1201ELNS1_3gpuE5ELNS1_3repE0EEENS1_30default_config_static_selectorELNS0_4arch9wavefront6targetE0EEEvT1_: ; @_ZN7rocprim17ROCPRIM_400000_NS6detail17trampoline_kernelINS0_14default_configENS1_27scan_by_key_config_selectorImiEEZZNS1_16scan_by_key_implILNS1_25lookback_scan_determinismE0ELb0ES3_N6thrust23THRUST_200600_302600_NS18transform_iteratorI9row_indexNS9_17counting_iteratorImNS9_11use_defaultESD_SD_EESD_SD_EENS9_6detail15normal_iteratorINS9_10device_ptrIiEEEESK_iNS9_4plusIvEENS9_8equal_toIvEEiEE10hipError_tPvRmT2_T3_T4_T5_mT6_T7_P12ihipStream_tbENKUlT_T0_E_clISt17integral_constantIbLb1EES14_IbLb0EEEEDaS10_S11_EUlS10_E_NS1_11comp_targetILNS1_3genE10ELNS1_11target_archE1201ELNS1_3gpuE5ELNS1_3repE0EEENS1_30default_config_static_selectorELNS0_4arch9wavefront6targetE0EEEvT1_
; %bb.0:
	.section	.rodata,"a",@progbits
	.p2align	6, 0x0
	.amdhsa_kernel _ZN7rocprim17ROCPRIM_400000_NS6detail17trampoline_kernelINS0_14default_configENS1_27scan_by_key_config_selectorImiEEZZNS1_16scan_by_key_implILNS1_25lookback_scan_determinismE0ELb0ES3_N6thrust23THRUST_200600_302600_NS18transform_iteratorI9row_indexNS9_17counting_iteratorImNS9_11use_defaultESD_SD_EESD_SD_EENS9_6detail15normal_iteratorINS9_10device_ptrIiEEEESK_iNS9_4plusIvEENS9_8equal_toIvEEiEE10hipError_tPvRmT2_T3_T4_T5_mT6_T7_P12ihipStream_tbENKUlT_T0_E_clISt17integral_constantIbLb1EES14_IbLb0EEEEDaS10_S11_EUlS10_E_NS1_11comp_targetILNS1_3genE10ELNS1_11target_archE1201ELNS1_3gpuE5ELNS1_3repE0EEENS1_30default_config_static_selectorELNS0_4arch9wavefront6targetE0EEEvT1_
		.amdhsa_group_segment_fixed_size 0
		.amdhsa_private_segment_fixed_size 0
		.amdhsa_kernarg_size 120
		.amdhsa_user_sgpr_count 15
		.amdhsa_user_sgpr_dispatch_ptr 0
		.amdhsa_user_sgpr_queue_ptr 0
		.amdhsa_user_sgpr_kernarg_segment_ptr 1
		.amdhsa_user_sgpr_dispatch_id 0
		.amdhsa_user_sgpr_private_segment_size 0
		.amdhsa_wavefront_size32 1
		.amdhsa_uses_dynamic_stack 0
		.amdhsa_enable_private_segment 0
		.amdhsa_system_sgpr_workgroup_id_x 1
		.amdhsa_system_sgpr_workgroup_id_y 0
		.amdhsa_system_sgpr_workgroup_id_z 0
		.amdhsa_system_sgpr_workgroup_info 0
		.amdhsa_system_vgpr_workitem_id 0
		.amdhsa_next_free_vgpr 1
		.amdhsa_next_free_sgpr 1
		.amdhsa_reserve_vcc 0
		.amdhsa_float_round_mode_32 0
		.amdhsa_float_round_mode_16_64 0
		.amdhsa_float_denorm_mode_32 3
		.amdhsa_float_denorm_mode_16_64 3
		.amdhsa_dx10_clamp 1
		.amdhsa_ieee_mode 1
		.amdhsa_fp16_overflow 0
		.amdhsa_workgroup_processor_mode 1
		.amdhsa_memory_ordered 1
		.amdhsa_forward_progress 0
		.amdhsa_shared_vgpr_count 0
		.amdhsa_exception_fp_ieee_invalid_op 0
		.amdhsa_exception_fp_denorm_src 0
		.amdhsa_exception_fp_ieee_div_zero 0
		.amdhsa_exception_fp_ieee_overflow 0
		.amdhsa_exception_fp_ieee_underflow 0
		.amdhsa_exception_fp_ieee_inexact 0
		.amdhsa_exception_int_div_zero 0
	.end_amdhsa_kernel
	.section	.text._ZN7rocprim17ROCPRIM_400000_NS6detail17trampoline_kernelINS0_14default_configENS1_27scan_by_key_config_selectorImiEEZZNS1_16scan_by_key_implILNS1_25lookback_scan_determinismE0ELb0ES3_N6thrust23THRUST_200600_302600_NS18transform_iteratorI9row_indexNS9_17counting_iteratorImNS9_11use_defaultESD_SD_EESD_SD_EENS9_6detail15normal_iteratorINS9_10device_ptrIiEEEESK_iNS9_4plusIvEENS9_8equal_toIvEEiEE10hipError_tPvRmT2_T3_T4_T5_mT6_T7_P12ihipStream_tbENKUlT_T0_E_clISt17integral_constantIbLb1EES14_IbLb0EEEEDaS10_S11_EUlS10_E_NS1_11comp_targetILNS1_3genE10ELNS1_11target_archE1201ELNS1_3gpuE5ELNS1_3repE0EEENS1_30default_config_static_selectorELNS0_4arch9wavefront6targetE0EEEvT1_,"axG",@progbits,_ZN7rocprim17ROCPRIM_400000_NS6detail17trampoline_kernelINS0_14default_configENS1_27scan_by_key_config_selectorImiEEZZNS1_16scan_by_key_implILNS1_25lookback_scan_determinismE0ELb0ES3_N6thrust23THRUST_200600_302600_NS18transform_iteratorI9row_indexNS9_17counting_iteratorImNS9_11use_defaultESD_SD_EESD_SD_EENS9_6detail15normal_iteratorINS9_10device_ptrIiEEEESK_iNS9_4plusIvEENS9_8equal_toIvEEiEE10hipError_tPvRmT2_T3_T4_T5_mT6_T7_P12ihipStream_tbENKUlT_T0_E_clISt17integral_constantIbLb1EES14_IbLb0EEEEDaS10_S11_EUlS10_E_NS1_11comp_targetILNS1_3genE10ELNS1_11target_archE1201ELNS1_3gpuE5ELNS1_3repE0EEENS1_30default_config_static_selectorELNS0_4arch9wavefront6targetE0EEEvT1_,comdat
.Lfunc_end26:
	.size	_ZN7rocprim17ROCPRIM_400000_NS6detail17trampoline_kernelINS0_14default_configENS1_27scan_by_key_config_selectorImiEEZZNS1_16scan_by_key_implILNS1_25lookback_scan_determinismE0ELb0ES3_N6thrust23THRUST_200600_302600_NS18transform_iteratorI9row_indexNS9_17counting_iteratorImNS9_11use_defaultESD_SD_EESD_SD_EENS9_6detail15normal_iteratorINS9_10device_ptrIiEEEESK_iNS9_4plusIvEENS9_8equal_toIvEEiEE10hipError_tPvRmT2_T3_T4_T5_mT6_T7_P12ihipStream_tbENKUlT_T0_E_clISt17integral_constantIbLb1EES14_IbLb0EEEEDaS10_S11_EUlS10_E_NS1_11comp_targetILNS1_3genE10ELNS1_11target_archE1201ELNS1_3gpuE5ELNS1_3repE0EEENS1_30default_config_static_selectorELNS0_4arch9wavefront6targetE0EEEvT1_, .Lfunc_end26-_ZN7rocprim17ROCPRIM_400000_NS6detail17trampoline_kernelINS0_14default_configENS1_27scan_by_key_config_selectorImiEEZZNS1_16scan_by_key_implILNS1_25lookback_scan_determinismE0ELb0ES3_N6thrust23THRUST_200600_302600_NS18transform_iteratorI9row_indexNS9_17counting_iteratorImNS9_11use_defaultESD_SD_EESD_SD_EENS9_6detail15normal_iteratorINS9_10device_ptrIiEEEESK_iNS9_4plusIvEENS9_8equal_toIvEEiEE10hipError_tPvRmT2_T3_T4_T5_mT6_T7_P12ihipStream_tbENKUlT_T0_E_clISt17integral_constantIbLb1EES14_IbLb0EEEEDaS10_S11_EUlS10_E_NS1_11comp_targetILNS1_3genE10ELNS1_11target_archE1201ELNS1_3gpuE5ELNS1_3repE0EEENS1_30default_config_static_selectorELNS0_4arch9wavefront6targetE0EEEvT1_
                                        ; -- End function
	.section	.AMDGPU.csdata,"",@progbits
; Kernel info:
; codeLenInByte = 0
; NumSgprs: 0
; NumVgprs: 0
; ScratchSize: 0
; MemoryBound: 0
; FloatMode: 240
; IeeeMode: 1
; LDSByteSize: 0 bytes/workgroup (compile time only)
; SGPRBlocks: 0
; VGPRBlocks: 0
; NumSGPRsForWavesPerEU: 1
; NumVGPRsForWavesPerEU: 1
; Occupancy: 16
; WaveLimiterHint : 0
; COMPUTE_PGM_RSRC2:SCRATCH_EN: 0
; COMPUTE_PGM_RSRC2:USER_SGPR: 15
; COMPUTE_PGM_RSRC2:TRAP_HANDLER: 0
; COMPUTE_PGM_RSRC2:TGID_X_EN: 1
; COMPUTE_PGM_RSRC2:TGID_Y_EN: 0
; COMPUTE_PGM_RSRC2:TGID_Z_EN: 0
; COMPUTE_PGM_RSRC2:TIDIG_COMP_CNT: 0
	.section	.text._ZN7rocprim17ROCPRIM_400000_NS6detail17trampoline_kernelINS0_14default_configENS1_27scan_by_key_config_selectorImiEEZZNS1_16scan_by_key_implILNS1_25lookback_scan_determinismE0ELb0ES3_N6thrust23THRUST_200600_302600_NS18transform_iteratorI9row_indexNS9_17counting_iteratorImNS9_11use_defaultESD_SD_EESD_SD_EENS9_6detail15normal_iteratorINS9_10device_ptrIiEEEESK_iNS9_4plusIvEENS9_8equal_toIvEEiEE10hipError_tPvRmT2_T3_T4_T5_mT6_T7_P12ihipStream_tbENKUlT_T0_E_clISt17integral_constantIbLb1EES14_IbLb0EEEEDaS10_S11_EUlS10_E_NS1_11comp_targetILNS1_3genE5ELNS1_11target_archE942ELNS1_3gpuE9ELNS1_3repE0EEENS1_30default_config_static_selectorELNS0_4arch9wavefront6targetE0EEEvT1_,"axG",@progbits,_ZN7rocprim17ROCPRIM_400000_NS6detail17trampoline_kernelINS0_14default_configENS1_27scan_by_key_config_selectorImiEEZZNS1_16scan_by_key_implILNS1_25lookback_scan_determinismE0ELb0ES3_N6thrust23THRUST_200600_302600_NS18transform_iteratorI9row_indexNS9_17counting_iteratorImNS9_11use_defaultESD_SD_EESD_SD_EENS9_6detail15normal_iteratorINS9_10device_ptrIiEEEESK_iNS9_4plusIvEENS9_8equal_toIvEEiEE10hipError_tPvRmT2_T3_T4_T5_mT6_T7_P12ihipStream_tbENKUlT_T0_E_clISt17integral_constantIbLb1EES14_IbLb0EEEEDaS10_S11_EUlS10_E_NS1_11comp_targetILNS1_3genE5ELNS1_11target_archE942ELNS1_3gpuE9ELNS1_3repE0EEENS1_30default_config_static_selectorELNS0_4arch9wavefront6targetE0EEEvT1_,comdat
	.protected	_ZN7rocprim17ROCPRIM_400000_NS6detail17trampoline_kernelINS0_14default_configENS1_27scan_by_key_config_selectorImiEEZZNS1_16scan_by_key_implILNS1_25lookback_scan_determinismE0ELb0ES3_N6thrust23THRUST_200600_302600_NS18transform_iteratorI9row_indexNS9_17counting_iteratorImNS9_11use_defaultESD_SD_EESD_SD_EENS9_6detail15normal_iteratorINS9_10device_ptrIiEEEESK_iNS9_4plusIvEENS9_8equal_toIvEEiEE10hipError_tPvRmT2_T3_T4_T5_mT6_T7_P12ihipStream_tbENKUlT_T0_E_clISt17integral_constantIbLb1EES14_IbLb0EEEEDaS10_S11_EUlS10_E_NS1_11comp_targetILNS1_3genE5ELNS1_11target_archE942ELNS1_3gpuE9ELNS1_3repE0EEENS1_30default_config_static_selectorELNS0_4arch9wavefront6targetE0EEEvT1_ ; -- Begin function _ZN7rocprim17ROCPRIM_400000_NS6detail17trampoline_kernelINS0_14default_configENS1_27scan_by_key_config_selectorImiEEZZNS1_16scan_by_key_implILNS1_25lookback_scan_determinismE0ELb0ES3_N6thrust23THRUST_200600_302600_NS18transform_iteratorI9row_indexNS9_17counting_iteratorImNS9_11use_defaultESD_SD_EESD_SD_EENS9_6detail15normal_iteratorINS9_10device_ptrIiEEEESK_iNS9_4plusIvEENS9_8equal_toIvEEiEE10hipError_tPvRmT2_T3_T4_T5_mT6_T7_P12ihipStream_tbENKUlT_T0_E_clISt17integral_constantIbLb1EES14_IbLb0EEEEDaS10_S11_EUlS10_E_NS1_11comp_targetILNS1_3genE5ELNS1_11target_archE942ELNS1_3gpuE9ELNS1_3repE0EEENS1_30default_config_static_selectorELNS0_4arch9wavefront6targetE0EEEvT1_
	.globl	_ZN7rocprim17ROCPRIM_400000_NS6detail17trampoline_kernelINS0_14default_configENS1_27scan_by_key_config_selectorImiEEZZNS1_16scan_by_key_implILNS1_25lookback_scan_determinismE0ELb0ES3_N6thrust23THRUST_200600_302600_NS18transform_iteratorI9row_indexNS9_17counting_iteratorImNS9_11use_defaultESD_SD_EESD_SD_EENS9_6detail15normal_iteratorINS9_10device_ptrIiEEEESK_iNS9_4plusIvEENS9_8equal_toIvEEiEE10hipError_tPvRmT2_T3_T4_T5_mT6_T7_P12ihipStream_tbENKUlT_T0_E_clISt17integral_constantIbLb1EES14_IbLb0EEEEDaS10_S11_EUlS10_E_NS1_11comp_targetILNS1_3genE5ELNS1_11target_archE942ELNS1_3gpuE9ELNS1_3repE0EEENS1_30default_config_static_selectorELNS0_4arch9wavefront6targetE0EEEvT1_
	.p2align	8
	.type	_ZN7rocprim17ROCPRIM_400000_NS6detail17trampoline_kernelINS0_14default_configENS1_27scan_by_key_config_selectorImiEEZZNS1_16scan_by_key_implILNS1_25lookback_scan_determinismE0ELb0ES3_N6thrust23THRUST_200600_302600_NS18transform_iteratorI9row_indexNS9_17counting_iteratorImNS9_11use_defaultESD_SD_EESD_SD_EENS9_6detail15normal_iteratorINS9_10device_ptrIiEEEESK_iNS9_4plusIvEENS9_8equal_toIvEEiEE10hipError_tPvRmT2_T3_T4_T5_mT6_T7_P12ihipStream_tbENKUlT_T0_E_clISt17integral_constantIbLb1EES14_IbLb0EEEEDaS10_S11_EUlS10_E_NS1_11comp_targetILNS1_3genE5ELNS1_11target_archE942ELNS1_3gpuE9ELNS1_3repE0EEENS1_30default_config_static_selectorELNS0_4arch9wavefront6targetE0EEEvT1_,@function
_ZN7rocprim17ROCPRIM_400000_NS6detail17trampoline_kernelINS0_14default_configENS1_27scan_by_key_config_selectorImiEEZZNS1_16scan_by_key_implILNS1_25lookback_scan_determinismE0ELb0ES3_N6thrust23THRUST_200600_302600_NS18transform_iteratorI9row_indexNS9_17counting_iteratorImNS9_11use_defaultESD_SD_EESD_SD_EENS9_6detail15normal_iteratorINS9_10device_ptrIiEEEESK_iNS9_4plusIvEENS9_8equal_toIvEEiEE10hipError_tPvRmT2_T3_T4_T5_mT6_T7_P12ihipStream_tbENKUlT_T0_E_clISt17integral_constantIbLb1EES14_IbLb0EEEEDaS10_S11_EUlS10_E_NS1_11comp_targetILNS1_3genE5ELNS1_11target_archE942ELNS1_3gpuE9ELNS1_3repE0EEENS1_30default_config_static_selectorELNS0_4arch9wavefront6targetE0EEEvT1_: ; @_ZN7rocprim17ROCPRIM_400000_NS6detail17trampoline_kernelINS0_14default_configENS1_27scan_by_key_config_selectorImiEEZZNS1_16scan_by_key_implILNS1_25lookback_scan_determinismE0ELb0ES3_N6thrust23THRUST_200600_302600_NS18transform_iteratorI9row_indexNS9_17counting_iteratorImNS9_11use_defaultESD_SD_EESD_SD_EENS9_6detail15normal_iteratorINS9_10device_ptrIiEEEESK_iNS9_4plusIvEENS9_8equal_toIvEEiEE10hipError_tPvRmT2_T3_T4_T5_mT6_T7_P12ihipStream_tbENKUlT_T0_E_clISt17integral_constantIbLb1EES14_IbLb0EEEEDaS10_S11_EUlS10_E_NS1_11comp_targetILNS1_3genE5ELNS1_11target_archE942ELNS1_3gpuE9ELNS1_3repE0EEENS1_30default_config_static_selectorELNS0_4arch9wavefront6targetE0EEEvT1_
; %bb.0:
	.section	.rodata,"a",@progbits
	.p2align	6, 0x0
	.amdhsa_kernel _ZN7rocprim17ROCPRIM_400000_NS6detail17trampoline_kernelINS0_14default_configENS1_27scan_by_key_config_selectorImiEEZZNS1_16scan_by_key_implILNS1_25lookback_scan_determinismE0ELb0ES3_N6thrust23THRUST_200600_302600_NS18transform_iteratorI9row_indexNS9_17counting_iteratorImNS9_11use_defaultESD_SD_EESD_SD_EENS9_6detail15normal_iteratorINS9_10device_ptrIiEEEESK_iNS9_4plusIvEENS9_8equal_toIvEEiEE10hipError_tPvRmT2_T3_T4_T5_mT6_T7_P12ihipStream_tbENKUlT_T0_E_clISt17integral_constantIbLb1EES14_IbLb0EEEEDaS10_S11_EUlS10_E_NS1_11comp_targetILNS1_3genE5ELNS1_11target_archE942ELNS1_3gpuE9ELNS1_3repE0EEENS1_30default_config_static_selectorELNS0_4arch9wavefront6targetE0EEEvT1_
		.amdhsa_group_segment_fixed_size 0
		.amdhsa_private_segment_fixed_size 0
		.amdhsa_kernarg_size 120
		.amdhsa_user_sgpr_count 15
		.amdhsa_user_sgpr_dispatch_ptr 0
		.amdhsa_user_sgpr_queue_ptr 0
		.amdhsa_user_sgpr_kernarg_segment_ptr 1
		.amdhsa_user_sgpr_dispatch_id 0
		.amdhsa_user_sgpr_private_segment_size 0
		.amdhsa_wavefront_size32 1
		.amdhsa_uses_dynamic_stack 0
		.amdhsa_enable_private_segment 0
		.amdhsa_system_sgpr_workgroup_id_x 1
		.amdhsa_system_sgpr_workgroup_id_y 0
		.amdhsa_system_sgpr_workgroup_id_z 0
		.amdhsa_system_sgpr_workgroup_info 0
		.amdhsa_system_vgpr_workitem_id 0
		.amdhsa_next_free_vgpr 1
		.amdhsa_next_free_sgpr 1
		.amdhsa_reserve_vcc 0
		.amdhsa_float_round_mode_32 0
		.amdhsa_float_round_mode_16_64 0
		.amdhsa_float_denorm_mode_32 3
		.amdhsa_float_denorm_mode_16_64 3
		.amdhsa_dx10_clamp 1
		.amdhsa_ieee_mode 1
		.amdhsa_fp16_overflow 0
		.amdhsa_workgroup_processor_mode 1
		.amdhsa_memory_ordered 1
		.amdhsa_forward_progress 0
		.amdhsa_shared_vgpr_count 0
		.amdhsa_exception_fp_ieee_invalid_op 0
		.amdhsa_exception_fp_denorm_src 0
		.amdhsa_exception_fp_ieee_div_zero 0
		.amdhsa_exception_fp_ieee_overflow 0
		.amdhsa_exception_fp_ieee_underflow 0
		.amdhsa_exception_fp_ieee_inexact 0
		.amdhsa_exception_int_div_zero 0
	.end_amdhsa_kernel
	.section	.text._ZN7rocprim17ROCPRIM_400000_NS6detail17trampoline_kernelINS0_14default_configENS1_27scan_by_key_config_selectorImiEEZZNS1_16scan_by_key_implILNS1_25lookback_scan_determinismE0ELb0ES3_N6thrust23THRUST_200600_302600_NS18transform_iteratorI9row_indexNS9_17counting_iteratorImNS9_11use_defaultESD_SD_EESD_SD_EENS9_6detail15normal_iteratorINS9_10device_ptrIiEEEESK_iNS9_4plusIvEENS9_8equal_toIvEEiEE10hipError_tPvRmT2_T3_T4_T5_mT6_T7_P12ihipStream_tbENKUlT_T0_E_clISt17integral_constantIbLb1EES14_IbLb0EEEEDaS10_S11_EUlS10_E_NS1_11comp_targetILNS1_3genE5ELNS1_11target_archE942ELNS1_3gpuE9ELNS1_3repE0EEENS1_30default_config_static_selectorELNS0_4arch9wavefront6targetE0EEEvT1_,"axG",@progbits,_ZN7rocprim17ROCPRIM_400000_NS6detail17trampoline_kernelINS0_14default_configENS1_27scan_by_key_config_selectorImiEEZZNS1_16scan_by_key_implILNS1_25lookback_scan_determinismE0ELb0ES3_N6thrust23THRUST_200600_302600_NS18transform_iteratorI9row_indexNS9_17counting_iteratorImNS9_11use_defaultESD_SD_EESD_SD_EENS9_6detail15normal_iteratorINS9_10device_ptrIiEEEESK_iNS9_4plusIvEENS9_8equal_toIvEEiEE10hipError_tPvRmT2_T3_T4_T5_mT6_T7_P12ihipStream_tbENKUlT_T0_E_clISt17integral_constantIbLb1EES14_IbLb0EEEEDaS10_S11_EUlS10_E_NS1_11comp_targetILNS1_3genE5ELNS1_11target_archE942ELNS1_3gpuE9ELNS1_3repE0EEENS1_30default_config_static_selectorELNS0_4arch9wavefront6targetE0EEEvT1_,comdat
.Lfunc_end27:
	.size	_ZN7rocprim17ROCPRIM_400000_NS6detail17trampoline_kernelINS0_14default_configENS1_27scan_by_key_config_selectorImiEEZZNS1_16scan_by_key_implILNS1_25lookback_scan_determinismE0ELb0ES3_N6thrust23THRUST_200600_302600_NS18transform_iteratorI9row_indexNS9_17counting_iteratorImNS9_11use_defaultESD_SD_EESD_SD_EENS9_6detail15normal_iteratorINS9_10device_ptrIiEEEESK_iNS9_4plusIvEENS9_8equal_toIvEEiEE10hipError_tPvRmT2_T3_T4_T5_mT6_T7_P12ihipStream_tbENKUlT_T0_E_clISt17integral_constantIbLb1EES14_IbLb0EEEEDaS10_S11_EUlS10_E_NS1_11comp_targetILNS1_3genE5ELNS1_11target_archE942ELNS1_3gpuE9ELNS1_3repE0EEENS1_30default_config_static_selectorELNS0_4arch9wavefront6targetE0EEEvT1_, .Lfunc_end27-_ZN7rocprim17ROCPRIM_400000_NS6detail17trampoline_kernelINS0_14default_configENS1_27scan_by_key_config_selectorImiEEZZNS1_16scan_by_key_implILNS1_25lookback_scan_determinismE0ELb0ES3_N6thrust23THRUST_200600_302600_NS18transform_iteratorI9row_indexNS9_17counting_iteratorImNS9_11use_defaultESD_SD_EESD_SD_EENS9_6detail15normal_iteratorINS9_10device_ptrIiEEEESK_iNS9_4plusIvEENS9_8equal_toIvEEiEE10hipError_tPvRmT2_T3_T4_T5_mT6_T7_P12ihipStream_tbENKUlT_T0_E_clISt17integral_constantIbLb1EES14_IbLb0EEEEDaS10_S11_EUlS10_E_NS1_11comp_targetILNS1_3genE5ELNS1_11target_archE942ELNS1_3gpuE9ELNS1_3repE0EEENS1_30default_config_static_selectorELNS0_4arch9wavefront6targetE0EEEvT1_
                                        ; -- End function
	.section	.AMDGPU.csdata,"",@progbits
; Kernel info:
; codeLenInByte = 0
; NumSgprs: 0
; NumVgprs: 0
; ScratchSize: 0
; MemoryBound: 0
; FloatMode: 240
; IeeeMode: 1
; LDSByteSize: 0 bytes/workgroup (compile time only)
; SGPRBlocks: 0
; VGPRBlocks: 0
; NumSGPRsForWavesPerEU: 1
; NumVGPRsForWavesPerEU: 1
; Occupancy: 16
; WaveLimiterHint : 0
; COMPUTE_PGM_RSRC2:SCRATCH_EN: 0
; COMPUTE_PGM_RSRC2:USER_SGPR: 15
; COMPUTE_PGM_RSRC2:TRAP_HANDLER: 0
; COMPUTE_PGM_RSRC2:TGID_X_EN: 1
; COMPUTE_PGM_RSRC2:TGID_Y_EN: 0
; COMPUTE_PGM_RSRC2:TGID_Z_EN: 0
; COMPUTE_PGM_RSRC2:TIDIG_COMP_CNT: 0
	.section	.text._ZN7rocprim17ROCPRIM_400000_NS6detail17trampoline_kernelINS0_14default_configENS1_27scan_by_key_config_selectorImiEEZZNS1_16scan_by_key_implILNS1_25lookback_scan_determinismE0ELb0ES3_N6thrust23THRUST_200600_302600_NS18transform_iteratorI9row_indexNS9_17counting_iteratorImNS9_11use_defaultESD_SD_EESD_SD_EENS9_6detail15normal_iteratorINS9_10device_ptrIiEEEESK_iNS9_4plusIvEENS9_8equal_toIvEEiEE10hipError_tPvRmT2_T3_T4_T5_mT6_T7_P12ihipStream_tbENKUlT_T0_E_clISt17integral_constantIbLb1EES14_IbLb0EEEEDaS10_S11_EUlS10_E_NS1_11comp_targetILNS1_3genE4ELNS1_11target_archE910ELNS1_3gpuE8ELNS1_3repE0EEENS1_30default_config_static_selectorELNS0_4arch9wavefront6targetE0EEEvT1_,"axG",@progbits,_ZN7rocprim17ROCPRIM_400000_NS6detail17trampoline_kernelINS0_14default_configENS1_27scan_by_key_config_selectorImiEEZZNS1_16scan_by_key_implILNS1_25lookback_scan_determinismE0ELb0ES3_N6thrust23THRUST_200600_302600_NS18transform_iteratorI9row_indexNS9_17counting_iteratorImNS9_11use_defaultESD_SD_EESD_SD_EENS9_6detail15normal_iteratorINS9_10device_ptrIiEEEESK_iNS9_4plusIvEENS9_8equal_toIvEEiEE10hipError_tPvRmT2_T3_T4_T5_mT6_T7_P12ihipStream_tbENKUlT_T0_E_clISt17integral_constantIbLb1EES14_IbLb0EEEEDaS10_S11_EUlS10_E_NS1_11comp_targetILNS1_3genE4ELNS1_11target_archE910ELNS1_3gpuE8ELNS1_3repE0EEENS1_30default_config_static_selectorELNS0_4arch9wavefront6targetE0EEEvT1_,comdat
	.protected	_ZN7rocprim17ROCPRIM_400000_NS6detail17trampoline_kernelINS0_14default_configENS1_27scan_by_key_config_selectorImiEEZZNS1_16scan_by_key_implILNS1_25lookback_scan_determinismE0ELb0ES3_N6thrust23THRUST_200600_302600_NS18transform_iteratorI9row_indexNS9_17counting_iteratorImNS9_11use_defaultESD_SD_EESD_SD_EENS9_6detail15normal_iteratorINS9_10device_ptrIiEEEESK_iNS9_4plusIvEENS9_8equal_toIvEEiEE10hipError_tPvRmT2_T3_T4_T5_mT6_T7_P12ihipStream_tbENKUlT_T0_E_clISt17integral_constantIbLb1EES14_IbLb0EEEEDaS10_S11_EUlS10_E_NS1_11comp_targetILNS1_3genE4ELNS1_11target_archE910ELNS1_3gpuE8ELNS1_3repE0EEENS1_30default_config_static_selectorELNS0_4arch9wavefront6targetE0EEEvT1_ ; -- Begin function _ZN7rocprim17ROCPRIM_400000_NS6detail17trampoline_kernelINS0_14default_configENS1_27scan_by_key_config_selectorImiEEZZNS1_16scan_by_key_implILNS1_25lookback_scan_determinismE0ELb0ES3_N6thrust23THRUST_200600_302600_NS18transform_iteratorI9row_indexNS9_17counting_iteratorImNS9_11use_defaultESD_SD_EESD_SD_EENS9_6detail15normal_iteratorINS9_10device_ptrIiEEEESK_iNS9_4plusIvEENS9_8equal_toIvEEiEE10hipError_tPvRmT2_T3_T4_T5_mT6_T7_P12ihipStream_tbENKUlT_T0_E_clISt17integral_constantIbLb1EES14_IbLb0EEEEDaS10_S11_EUlS10_E_NS1_11comp_targetILNS1_3genE4ELNS1_11target_archE910ELNS1_3gpuE8ELNS1_3repE0EEENS1_30default_config_static_selectorELNS0_4arch9wavefront6targetE0EEEvT1_
	.globl	_ZN7rocprim17ROCPRIM_400000_NS6detail17trampoline_kernelINS0_14default_configENS1_27scan_by_key_config_selectorImiEEZZNS1_16scan_by_key_implILNS1_25lookback_scan_determinismE0ELb0ES3_N6thrust23THRUST_200600_302600_NS18transform_iteratorI9row_indexNS9_17counting_iteratorImNS9_11use_defaultESD_SD_EESD_SD_EENS9_6detail15normal_iteratorINS9_10device_ptrIiEEEESK_iNS9_4plusIvEENS9_8equal_toIvEEiEE10hipError_tPvRmT2_T3_T4_T5_mT6_T7_P12ihipStream_tbENKUlT_T0_E_clISt17integral_constantIbLb1EES14_IbLb0EEEEDaS10_S11_EUlS10_E_NS1_11comp_targetILNS1_3genE4ELNS1_11target_archE910ELNS1_3gpuE8ELNS1_3repE0EEENS1_30default_config_static_selectorELNS0_4arch9wavefront6targetE0EEEvT1_
	.p2align	8
	.type	_ZN7rocprim17ROCPRIM_400000_NS6detail17trampoline_kernelINS0_14default_configENS1_27scan_by_key_config_selectorImiEEZZNS1_16scan_by_key_implILNS1_25lookback_scan_determinismE0ELb0ES3_N6thrust23THRUST_200600_302600_NS18transform_iteratorI9row_indexNS9_17counting_iteratorImNS9_11use_defaultESD_SD_EESD_SD_EENS9_6detail15normal_iteratorINS9_10device_ptrIiEEEESK_iNS9_4plusIvEENS9_8equal_toIvEEiEE10hipError_tPvRmT2_T3_T4_T5_mT6_T7_P12ihipStream_tbENKUlT_T0_E_clISt17integral_constantIbLb1EES14_IbLb0EEEEDaS10_S11_EUlS10_E_NS1_11comp_targetILNS1_3genE4ELNS1_11target_archE910ELNS1_3gpuE8ELNS1_3repE0EEENS1_30default_config_static_selectorELNS0_4arch9wavefront6targetE0EEEvT1_,@function
_ZN7rocprim17ROCPRIM_400000_NS6detail17trampoline_kernelINS0_14default_configENS1_27scan_by_key_config_selectorImiEEZZNS1_16scan_by_key_implILNS1_25lookback_scan_determinismE0ELb0ES3_N6thrust23THRUST_200600_302600_NS18transform_iteratorI9row_indexNS9_17counting_iteratorImNS9_11use_defaultESD_SD_EESD_SD_EENS9_6detail15normal_iteratorINS9_10device_ptrIiEEEESK_iNS9_4plusIvEENS9_8equal_toIvEEiEE10hipError_tPvRmT2_T3_T4_T5_mT6_T7_P12ihipStream_tbENKUlT_T0_E_clISt17integral_constantIbLb1EES14_IbLb0EEEEDaS10_S11_EUlS10_E_NS1_11comp_targetILNS1_3genE4ELNS1_11target_archE910ELNS1_3gpuE8ELNS1_3repE0EEENS1_30default_config_static_selectorELNS0_4arch9wavefront6targetE0EEEvT1_: ; @_ZN7rocprim17ROCPRIM_400000_NS6detail17trampoline_kernelINS0_14default_configENS1_27scan_by_key_config_selectorImiEEZZNS1_16scan_by_key_implILNS1_25lookback_scan_determinismE0ELb0ES3_N6thrust23THRUST_200600_302600_NS18transform_iteratorI9row_indexNS9_17counting_iteratorImNS9_11use_defaultESD_SD_EESD_SD_EENS9_6detail15normal_iteratorINS9_10device_ptrIiEEEESK_iNS9_4plusIvEENS9_8equal_toIvEEiEE10hipError_tPvRmT2_T3_T4_T5_mT6_T7_P12ihipStream_tbENKUlT_T0_E_clISt17integral_constantIbLb1EES14_IbLb0EEEEDaS10_S11_EUlS10_E_NS1_11comp_targetILNS1_3genE4ELNS1_11target_archE910ELNS1_3gpuE8ELNS1_3repE0EEENS1_30default_config_static_selectorELNS0_4arch9wavefront6targetE0EEEvT1_
; %bb.0:
	.section	.rodata,"a",@progbits
	.p2align	6, 0x0
	.amdhsa_kernel _ZN7rocprim17ROCPRIM_400000_NS6detail17trampoline_kernelINS0_14default_configENS1_27scan_by_key_config_selectorImiEEZZNS1_16scan_by_key_implILNS1_25lookback_scan_determinismE0ELb0ES3_N6thrust23THRUST_200600_302600_NS18transform_iteratorI9row_indexNS9_17counting_iteratorImNS9_11use_defaultESD_SD_EESD_SD_EENS9_6detail15normal_iteratorINS9_10device_ptrIiEEEESK_iNS9_4plusIvEENS9_8equal_toIvEEiEE10hipError_tPvRmT2_T3_T4_T5_mT6_T7_P12ihipStream_tbENKUlT_T0_E_clISt17integral_constantIbLb1EES14_IbLb0EEEEDaS10_S11_EUlS10_E_NS1_11comp_targetILNS1_3genE4ELNS1_11target_archE910ELNS1_3gpuE8ELNS1_3repE0EEENS1_30default_config_static_selectorELNS0_4arch9wavefront6targetE0EEEvT1_
		.amdhsa_group_segment_fixed_size 0
		.amdhsa_private_segment_fixed_size 0
		.amdhsa_kernarg_size 120
		.amdhsa_user_sgpr_count 15
		.amdhsa_user_sgpr_dispatch_ptr 0
		.amdhsa_user_sgpr_queue_ptr 0
		.amdhsa_user_sgpr_kernarg_segment_ptr 1
		.amdhsa_user_sgpr_dispatch_id 0
		.amdhsa_user_sgpr_private_segment_size 0
		.amdhsa_wavefront_size32 1
		.amdhsa_uses_dynamic_stack 0
		.amdhsa_enable_private_segment 0
		.amdhsa_system_sgpr_workgroup_id_x 1
		.amdhsa_system_sgpr_workgroup_id_y 0
		.amdhsa_system_sgpr_workgroup_id_z 0
		.amdhsa_system_sgpr_workgroup_info 0
		.amdhsa_system_vgpr_workitem_id 0
		.amdhsa_next_free_vgpr 1
		.amdhsa_next_free_sgpr 1
		.amdhsa_reserve_vcc 0
		.amdhsa_float_round_mode_32 0
		.amdhsa_float_round_mode_16_64 0
		.amdhsa_float_denorm_mode_32 3
		.amdhsa_float_denorm_mode_16_64 3
		.amdhsa_dx10_clamp 1
		.amdhsa_ieee_mode 1
		.amdhsa_fp16_overflow 0
		.amdhsa_workgroup_processor_mode 1
		.amdhsa_memory_ordered 1
		.amdhsa_forward_progress 0
		.amdhsa_shared_vgpr_count 0
		.amdhsa_exception_fp_ieee_invalid_op 0
		.amdhsa_exception_fp_denorm_src 0
		.amdhsa_exception_fp_ieee_div_zero 0
		.amdhsa_exception_fp_ieee_overflow 0
		.amdhsa_exception_fp_ieee_underflow 0
		.amdhsa_exception_fp_ieee_inexact 0
		.amdhsa_exception_int_div_zero 0
	.end_amdhsa_kernel
	.section	.text._ZN7rocprim17ROCPRIM_400000_NS6detail17trampoline_kernelINS0_14default_configENS1_27scan_by_key_config_selectorImiEEZZNS1_16scan_by_key_implILNS1_25lookback_scan_determinismE0ELb0ES3_N6thrust23THRUST_200600_302600_NS18transform_iteratorI9row_indexNS9_17counting_iteratorImNS9_11use_defaultESD_SD_EESD_SD_EENS9_6detail15normal_iteratorINS9_10device_ptrIiEEEESK_iNS9_4plusIvEENS9_8equal_toIvEEiEE10hipError_tPvRmT2_T3_T4_T5_mT6_T7_P12ihipStream_tbENKUlT_T0_E_clISt17integral_constantIbLb1EES14_IbLb0EEEEDaS10_S11_EUlS10_E_NS1_11comp_targetILNS1_3genE4ELNS1_11target_archE910ELNS1_3gpuE8ELNS1_3repE0EEENS1_30default_config_static_selectorELNS0_4arch9wavefront6targetE0EEEvT1_,"axG",@progbits,_ZN7rocprim17ROCPRIM_400000_NS6detail17trampoline_kernelINS0_14default_configENS1_27scan_by_key_config_selectorImiEEZZNS1_16scan_by_key_implILNS1_25lookback_scan_determinismE0ELb0ES3_N6thrust23THRUST_200600_302600_NS18transform_iteratorI9row_indexNS9_17counting_iteratorImNS9_11use_defaultESD_SD_EESD_SD_EENS9_6detail15normal_iteratorINS9_10device_ptrIiEEEESK_iNS9_4plusIvEENS9_8equal_toIvEEiEE10hipError_tPvRmT2_T3_T4_T5_mT6_T7_P12ihipStream_tbENKUlT_T0_E_clISt17integral_constantIbLb1EES14_IbLb0EEEEDaS10_S11_EUlS10_E_NS1_11comp_targetILNS1_3genE4ELNS1_11target_archE910ELNS1_3gpuE8ELNS1_3repE0EEENS1_30default_config_static_selectorELNS0_4arch9wavefront6targetE0EEEvT1_,comdat
.Lfunc_end28:
	.size	_ZN7rocprim17ROCPRIM_400000_NS6detail17trampoline_kernelINS0_14default_configENS1_27scan_by_key_config_selectorImiEEZZNS1_16scan_by_key_implILNS1_25lookback_scan_determinismE0ELb0ES3_N6thrust23THRUST_200600_302600_NS18transform_iteratorI9row_indexNS9_17counting_iteratorImNS9_11use_defaultESD_SD_EESD_SD_EENS9_6detail15normal_iteratorINS9_10device_ptrIiEEEESK_iNS9_4plusIvEENS9_8equal_toIvEEiEE10hipError_tPvRmT2_T3_T4_T5_mT6_T7_P12ihipStream_tbENKUlT_T0_E_clISt17integral_constantIbLb1EES14_IbLb0EEEEDaS10_S11_EUlS10_E_NS1_11comp_targetILNS1_3genE4ELNS1_11target_archE910ELNS1_3gpuE8ELNS1_3repE0EEENS1_30default_config_static_selectorELNS0_4arch9wavefront6targetE0EEEvT1_, .Lfunc_end28-_ZN7rocprim17ROCPRIM_400000_NS6detail17trampoline_kernelINS0_14default_configENS1_27scan_by_key_config_selectorImiEEZZNS1_16scan_by_key_implILNS1_25lookback_scan_determinismE0ELb0ES3_N6thrust23THRUST_200600_302600_NS18transform_iteratorI9row_indexNS9_17counting_iteratorImNS9_11use_defaultESD_SD_EESD_SD_EENS9_6detail15normal_iteratorINS9_10device_ptrIiEEEESK_iNS9_4plusIvEENS9_8equal_toIvEEiEE10hipError_tPvRmT2_T3_T4_T5_mT6_T7_P12ihipStream_tbENKUlT_T0_E_clISt17integral_constantIbLb1EES14_IbLb0EEEEDaS10_S11_EUlS10_E_NS1_11comp_targetILNS1_3genE4ELNS1_11target_archE910ELNS1_3gpuE8ELNS1_3repE0EEENS1_30default_config_static_selectorELNS0_4arch9wavefront6targetE0EEEvT1_
                                        ; -- End function
	.section	.AMDGPU.csdata,"",@progbits
; Kernel info:
; codeLenInByte = 0
; NumSgprs: 0
; NumVgprs: 0
; ScratchSize: 0
; MemoryBound: 0
; FloatMode: 240
; IeeeMode: 1
; LDSByteSize: 0 bytes/workgroup (compile time only)
; SGPRBlocks: 0
; VGPRBlocks: 0
; NumSGPRsForWavesPerEU: 1
; NumVGPRsForWavesPerEU: 1
; Occupancy: 16
; WaveLimiterHint : 0
; COMPUTE_PGM_RSRC2:SCRATCH_EN: 0
; COMPUTE_PGM_RSRC2:USER_SGPR: 15
; COMPUTE_PGM_RSRC2:TRAP_HANDLER: 0
; COMPUTE_PGM_RSRC2:TGID_X_EN: 1
; COMPUTE_PGM_RSRC2:TGID_Y_EN: 0
; COMPUTE_PGM_RSRC2:TGID_Z_EN: 0
; COMPUTE_PGM_RSRC2:TIDIG_COMP_CNT: 0
	.section	.text._ZN7rocprim17ROCPRIM_400000_NS6detail17trampoline_kernelINS0_14default_configENS1_27scan_by_key_config_selectorImiEEZZNS1_16scan_by_key_implILNS1_25lookback_scan_determinismE0ELb0ES3_N6thrust23THRUST_200600_302600_NS18transform_iteratorI9row_indexNS9_17counting_iteratorImNS9_11use_defaultESD_SD_EESD_SD_EENS9_6detail15normal_iteratorINS9_10device_ptrIiEEEESK_iNS9_4plusIvEENS9_8equal_toIvEEiEE10hipError_tPvRmT2_T3_T4_T5_mT6_T7_P12ihipStream_tbENKUlT_T0_E_clISt17integral_constantIbLb1EES14_IbLb0EEEEDaS10_S11_EUlS10_E_NS1_11comp_targetILNS1_3genE3ELNS1_11target_archE908ELNS1_3gpuE7ELNS1_3repE0EEENS1_30default_config_static_selectorELNS0_4arch9wavefront6targetE0EEEvT1_,"axG",@progbits,_ZN7rocprim17ROCPRIM_400000_NS6detail17trampoline_kernelINS0_14default_configENS1_27scan_by_key_config_selectorImiEEZZNS1_16scan_by_key_implILNS1_25lookback_scan_determinismE0ELb0ES3_N6thrust23THRUST_200600_302600_NS18transform_iteratorI9row_indexNS9_17counting_iteratorImNS9_11use_defaultESD_SD_EESD_SD_EENS9_6detail15normal_iteratorINS9_10device_ptrIiEEEESK_iNS9_4plusIvEENS9_8equal_toIvEEiEE10hipError_tPvRmT2_T3_T4_T5_mT6_T7_P12ihipStream_tbENKUlT_T0_E_clISt17integral_constantIbLb1EES14_IbLb0EEEEDaS10_S11_EUlS10_E_NS1_11comp_targetILNS1_3genE3ELNS1_11target_archE908ELNS1_3gpuE7ELNS1_3repE0EEENS1_30default_config_static_selectorELNS0_4arch9wavefront6targetE0EEEvT1_,comdat
	.protected	_ZN7rocprim17ROCPRIM_400000_NS6detail17trampoline_kernelINS0_14default_configENS1_27scan_by_key_config_selectorImiEEZZNS1_16scan_by_key_implILNS1_25lookback_scan_determinismE0ELb0ES3_N6thrust23THRUST_200600_302600_NS18transform_iteratorI9row_indexNS9_17counting_iteratorImNS9_11use_defaultESD_SD_EESD_SD_EENS9_6detail15normal_iteratorINS9_10device_ptrIiEEEESK_iNS9_4plusIvEENS9_8equal_toIvEEiEE10hipError_tPvRmT2_T3_T4_T5_mT6_T7_P12ihipStream_tbENKUlT_T0_E_clISt17integral_constantIbLb1EES14_IbLb0EEEEDaS10_S11_EUlS10_E_NS1_11comp_targetILNS1_3genE3ELNS1_11target_archE908ELNS1_3gpuE7ELNS1_3repE0EEENS1_30default_config_static_selectorELNS0_4arch9wavefront6targetE0EEEvT1_ ; -- Begin function _ZN7rocprim17ROCPRIM_400000_NS6detail17trampoline_kernelINS0_14default_configENS1_27scan_by_key_config_selectorImiEEZZNS1_16scan_by_key_implILNS1_25lookback_scan_determinismE0ELb0ES3_N6thrust23THRUST_200600_302600_NS18transform_iteratorI9row_indexNS9_17counting_iteratorImNS9_11use_defaultESD_SD_EESD_SD_EENS9_6detail15normal_iteratorINS9_10device_ptrIiEEEESK_iNS9_4plusIvEENS9_8equal_toIvEEiEE10hipError_tPvRmT2_T3_T4_T5_mT6_T7_P12ihipStream_tbENKUlT_T0_E_clISt17integral_constantIbLb1EES14_IbLb0EEEEDaS10_S11_EUlS10_E_NS1_11comp_targetILNS1_3genE3ELNS1_11target_archE908ELNS1_3gpuE7ELNS1_3repE0EEENS1_30default_config_static_selectorELNS0_4arch9wavefront6targetE0EEEvT1_
	.globl	_ZN7rocprim17ROCPRIM_400000_NS6detail17trampoline_kernelINS0_14default_configENS1_27scan_by_key_config_selectorImiEEZZNS1_16scan_by_key_implILNS1_25lookback_scan_determinismE0ELb0ES3_N6thrust23THRUST_200600_302600_NS18transform_iteratorI9row_indexNS9_17counting_iteratorImNS9_11use_defaultESD_SD_EESD_SD_EENS9_6detail15normal_iteratorINS9_10device_ptrIiEEEESK_iNS9_4plusIvEENS9_8equal_toIvEEiEE10hipError_tPvRmT2_T3_T4_T5_mT6_T7_P12ihipStream_tbENKUlT_T0_E_clISt17integral_constantIbLb1EES14_IbLb0EEEEDaS10_S11_EUlS10_E_NS1_11comp_targetILNS1_3genE3ELNS1_11target_archE908ELNS1_3gpuE7ELNS1_3repE0EEENS1_30default_config_static_selectorELNS0_4arch9wavefront6targetE0EEEvT1_
	.p2align	8
	.type	_ZN7rocprim17ROCPRIM_400000_NS6detail17trampoline_kernelINS0_14default_configENS1_27scan_by_key_config_selectorImiEEZZNS1_16scan_by_key_implILNS1_25lookback_scan_determinismE0ELb0ES3_N6thrust23THRUST_200600_302600_NS18transform_iteratorI9row_indexNS9_17counting_iteratorImNS9_11use_defaultESD_SD_EESD_SD_EENS9_6detail15normal_iteratorINS9_10device_ptrIiEEEESK_iNS9_4plusIvEENS9_8equal_toIvEEiEE10hipError_tPvRmT2_T3_T4_T5_mT6_T7_P12ihipStream_tbENKUlT_T0_E_clISt17integral_constantIbLb1EES14_IbLb0EEEEDaS10_S11_EUlS10_E_NS1_11comp_targetILNS1_3genE3ELNS1_11target_archE908ELNS1_3gpuE7ELNS1_3repE0EEENS1_30default_config_static_selectorELNS0_4arch9wavefront6targetE0EEEvT1_,@function
_ZN7rocprim17ROCPRIM_400000_NS6detail17trampoline_kernelINS0_14default_configENS1_27scan_by_key_config_selectorImiEEZZNS1_16scan_by_key_implILNS1_25lookback_scan_determinismE0ELb0ES3_N6thrust23THRUST_200600_302600_NS18transform_iteratorI9row_indexNS9_17counting_iteratorImNS9_11use_defaultESD_SD_EESD_SD_EENS9_6detail15normal_iteratorINS9_10device_ptrIiEEEESK_iNS9_4plusIvEENS9_8equal_toIvEEiEE10hipError_tPvRmT2_T3_T4_T5_mT6_T7_P12ihipStream_tbENKUlT_T0_E_clISt17integral_constantIbLb1EES14_IbLb0EEEEDaS10_S11_EUlS10_E_NS1_11comp_targetILNS1_3genE3ELNS1_11target_archE908ELNS1_3gpuE7ELNS1_3repE0EEENS1_30default_config_static_selectorELNS0_4arch9wavefront6targetE0EEEvT1_: ; @_ZN7rocprim17ROCPRIM_400000_NS6detail17trampoline_kernelINS0_14default_configENS1_27scan_by_key_config_selectorImiEEZZNS1_16scan_by_key_implILNS1_25lookback_scan_determinismE0ELb0ES3_N6thrust23THRUST_200600_302600_NS18transform_iteratorI9row_indexNS9_17counting_iteratorImNS9_11use_defaultESD_SD_EESD_SD_EENS9_6detail15normal_iteratorINS9_10device_ptrIiEEEESK_iNS9_4plusIvEENS9_8equal_toIvEEiEE10hipError_tPvRmT2_T3_T4_T5_mT6_T7_P12ihipStream_tbENKUlT_T0_E_clISt17integral_constantIbLb1EES14_IbLb0EEEEDaS10_S11_EUlS10_E_NS1_11comp_targetILNS1_3genE3ELNS1_11target_archE908ELNS1_3gpuE7ELNS1_3repE0EEENS1_30default_config_static_selectorELNS0_4arch9wavefront6targetE0EEEvT1_
; %bb.0:
	.section	.rodata,"a",@progbits
	.p2align	6, 0x0
	.amdhsa_kernel _ZN7rocprim17ROCPRIM_400000_NS6detail17trampoline_kernelINS0_14default_configENS1_27scan_by_key_config_selectorImiEEZZNS1_16scan_by_key_implILNS1_25lookback_scan_determinismE0ELb0ES3_N6thrust23THRUST_200600_302600_NS18transform_iteratorI9row_indexNS9_17counting_iteratorImNS9_11use_defaultESD_SD_EESD_SD_EENS9_6detail15normal_iteratorINS9_10device_ptrIiEEEESK_iNS9_4plusIvEENS9_8equal_toIvEEiEE10hipError_tPvRmT2_T3_T4_T5_mT6_T7_P12ihipStream_tbENKUlT_T0_E_clISt17integral_constantIbLb1EES14_IbLb0EEEEDaS10_S11_EUlS10_E_NS1_11comp_targetILNS1_3genE3ELNS1_11target_archE908ELNS1_3gpuE7ELNS1_3repE0EEENS1_30default_config_static_selectorELNS0_4arch9wavefront6targetE0EEEvT1_
		.amdhsa_group_segment_fixed_size 0
		.amdhsa_private_segment_fixed_size 0
		.amdhsa_kernarg_size 120
		.amdhsa_user_sgpr_count 15
		.amdhsa_user_sgpr_dispatch_ptr 0
		.amdhsa_user_sgpr_queue_ptr 0
		.amdhsa_user_sgpr_kernarg_segment_ptr 1
		.amdhsa_user_sgpr_dispatch_id 0
		.amdhsa_user_sgpr_private_segment_size 0
		.amdhsa_wavefront_size32 1
		.amdhsa_uses_dynamic_stack 0
		.amdhsa_enable_private_segment 0
		.amdhsa_system_sgpr_workgroup_id_x 1
		.amdhsa_system_sgpr_workgroup_id_y 0
		.amdhsa_system_sgpr_workgroup_id_z 0
		.amdhsa_system_sgpr_workgroup_info 0
		.amdhsa_system_vgpr_workitem_id 0
		.amdhsa_next_free_vgpr 1
		.amdhsa_next_free_sgpr 1
		.amdhsa_reserve_vcc 0
		.amdhsa_float_round_mode_32 0
		.amdhsa_float_round_mode_16_64 0
		.amdhsa_float_denorm_mode_32 3
		.amdhsa_float_denorm_mode_16_64 3
		.amdhsa_dx10_clamp 1
		.amdhsa_ieee_mode 1
		.amdhsa_fp16_overflow 0
		.amdhsa_workgroup_processor_mode 1
		.amdhsa_memory_ordered 1
		.amdhsa_forward_progress 0
		.amdhsa_shared_vgpr_count 0
		.amdhsa_exception_fp_ieee_invalid_op 0
		.amdhsa_exception_fp_denorm_src 0
		.amdhsa_exception_fp_ieee_div_zero 0
		.amdhsa_exception_fp_ieee_overflow 0
		.amdhsa_exception_fp_ieee_underflow 0
		.amdhsa_exception_fp_ieee_inexact 0
		.amdhsa_exception_int_div_zero 0
	.end_amdhsa_kernel
	.section	.text._ZN7rocprim17ROCPRIM_400000_NS6detail17trampoline_kernelINS0_14default_configENS1_27scan_by_key_config_selectorImiEEZZNS1_16scan_by_key_implILNS1_25lookback_scan_determinismE0ELb0ES3_N6thrust23THRUST_200600_302600_NS18transform_iteratorI9row_indexNS9_17counting_iteratorImNS9_11use_defaultESD_SD_EESD_SD_EENS9_6detail15normal_iteratorINS9_10device_ptrIiEEEESK_iNS9_4plusIvEENS9_8equal_toIvEEiEE10hipError_tPvRmT2_T3_T4_T5_mT6_T7_P12ihipStream_tbENKUlT_T0_E_clISt17integral_constantIbLb1EES14_IbLb0EEEEDaS10_S11_EUlS10_E_NS1_11comp_targetILNS1_3genE3ELNS1_11target_archE908ELNS1_3gpuE7ELNS1_3repE0EEENS1_30default_config_static_selectorELNS0_4arch9wavefront6targetE0EEEvT1_,"axG",@progbits,_ZN7rocprim17ROCPRIM_400000_NS6detail17trampoline_kernelINS0_14default_configENS1_27scan_by_key_config_selectorImiEEZZNS1_16scan_by_key_implILNS1_25lookback_scan_determinismE0ELb0ES3_N6thrust23THRUST_200600_302600_NS18transform_iteratorI9row_indexNS9_17counting_iteratorImNS9_11use_defaultESD_SD_EESD_SD_EENS9_6detail15normal_iteratorINS9_10device_ptrIiEEEESK_iNS9_4plusIvEENS9_8equal_toIvEEiEE10hipError_tPvRmT2_T3_T4_T5_mT6_T7_P12ihipStream_tbENKUlT_T0_E_clISt17integral_constantIbLb1EES14_IbLb0EEEEDaS10_S11_EUlS10_E_NS1_11comp_targetILNS1_3genE3ELNS1_11target_archE908ELNS1_3gpuE7ELNS1_3repE0EEENS1_30default_config_static_selectorELNS0_4arch9wavefront6targetE0EEEvT1_,comdat
.Lfunc_end29:
	.size	_ZN7rocprim17ROCPRIM_400000_NS6detail17trampoline_kernelINS0_14default_configENS1_27scan_by_key_config_selectorImiEEZZNS1_16scan_by_key_implILNS1_25lookback_scan_determinismE0ELb0ES3_N6thrust23THRUST_200600_302600_NS18transform_iteratorI9row_indexNS9_17counting_iteratorImNS9_11use_defaultESD_SD_EESD_SD_EENS9_6detail15normal_iteratorINS9_10device_ptrIiEEEESK_iNS9_4plusIvEENS9_8equal_toIvEEiEE10hipError_tPvRmT2_T3_T4_T5_mT6_T7_P12ihipStream_tbENKUlT_T0_E_clISt17integral_constantIbLb1EES14_IbLb0EEEEDaS10_S11_EUlS10_E_NS1_11comp_targetILNS1_3genE3ELNS1_11target_archE908ELNS1_3gpuE7ELNS1_3repE0EEENS1_30default_config_static_selectorELNS0_4arch9wavefront6targetE0EEEvT1_, .Lfunc_end29-_ZN7rocprim17ROCPRIM_400000_NS6detail17trampoline_kernelINS0_14default_configENS1_27scan_by_key_config_selectorImiEEZZNS1_16scan_by_key_implILNS1_25lookback_scan_determinismE0ELb0ES3_N6thrust23THRUST_200600_302600_NS18transform_iteratorI9row_indexNS9_17counting_iteratorImNS9_11use_defaultESD_SD_EESD_SD_EENS9_6detail15normal_iteratorINS9_10device_ptrIiEEEESK_iNS9_4plusIvEENS9_8equal_toIvEEiEE10hipError_tPvRmT2_T3_T4_T5_mT6_T7_P12ihipStream_tbENKUlT_T0_E_clISt17integral_constantIbLb1EES14_IbLb0EEEEDaS10_S11_EUlS10_E_NS1_11comp_targetILNS1_3genE3ELNS1_11target_archE908ELNS1_3gpuE7ELNS1_3repE0EEENS1_30default_config_static_selectorELNS0_4arch9wavefront6targetE0EEEvT1_
                                        ; -- End function
	.section	.AMDGPU.csdata,"",@progbits
; Kernel info:
; codeLenInByte = 0
; NumSgprs: 0
; NumVgprs: 0
; ScratchSize: 0
; MemoryBound: 0
; FloatMode: 240
; IeeeMode: 1
; LDSByteSize: 0 bytes/workgroup (compile time only)
; SGPRBlocks: 0
; VGPRBlocks: 0
; NumSGPRsForWavesPerEU: 1
; NumVGPRsForWavesPerEU: 1
; Occupancy: 16
; WaveLimiterHint : 0
; COMPUTE_PGM_RSRC2:SCRATCH_EN: 0
; COMPUTE_PGM_RSRC2:USER_SGPR: 15
; COMPUTE_PGM_RSRC2:TRAP_HANDLER: 0
; COMPUTE_PGM_RSRC2:TGID_X_EN: 1
; COMPUTE_PGM_RSRC2:TGID_Y_EN: 0
; COMPUTE_PGM_RSRC2:TGID_Z_EN: 0
; COMPUTE_PGM_RSRC2:TIDIG_COMP_CNT: 0
	.section	.text._ZN7rocprim17ROCPRIM_400000_NS6detail17trampoline_kernelINS0_14default_configENS1_27scan_by_key_config_selectorImiEEZZNS1_16scan_by_key_implILNS1_25lookback_scan_determinismE0ELb0ES3_N6thrust23THRUST_200600_302600_NS18transform_iteratorI9row_indexNS9_17counting_iteratorImNS9_11use_defaultESD_SD_EESD_SD_EENS9_6detail15normal_iteratorINS9_10device_ptrIiEEEESK_iNS9_4plusIvEENS9_8equal_toIvEEiEE10hipError_tPvRmT2_T3_T4_T5_mT6_T7_P12ihipStream_tbENKUlT_T0_E_clISt17integral_constantIbLb1EES14_IbLb0EEEEDaS10_S11_EUlS10_E_NS1_11comp_targetILNS1_3genE2ELNS1_11target_archE906ELNS1_3gpuE6ELNS1_3repE0EEENS1_30default_config_static_selectorELNS0_4arch9wavefront6targetE0EEEvT1_,"axG",@progbits,_ZN7rocprim17ROCPRIM_400000_NS6detail17trampoline_kernelINS0_14default_configENS1_27scan_by_key_config_selectorImiEEZZNS1_16scan_by_key_implILNS1_25lookback_scan_determinismE0ELb0ES3_N6thrust23THRUST_200600_302600_NS18transform_iteratorI9row_indexNS9_17counting_iteratorImNS9_11use_defaultESD_SD_EESD_SD_EENS9_6detail15normal_iteratorINS9_10device_ptrIiEEEESK_iNS9_4plusIvEENS9_8equal_toIvEEiEE10hipError_tPvRmT2_T3_T4_T5_mT6_T7_P12ihipStream_tbENKUlT_T0_E_clISt17integral_constantIbLb1EES14_IbLb0EEEEDaS10_S11_EUlS10_E_NS1_11comp_targetILNS1_3genE2ELNS1_11target_archE906ELNS1_3gpuE6ELNS1_3repE0EEENS1_30default_config_static_selectorELNS0_4arch9wavefront6targetE0EEEvT1_,comdat
	.protected	_ZN7rocprim17ROCPRIM_400000_NS6detail17trampoline_kernelINS0_14default_configENS1_27scan_by_key_config_selectorImiEEZZNS1_16scan_by_key_implILNS1_25lookback_scan_determinismE0ELb0ES3_N6thrust23THRUST_200600_302600_NS18transform_iteratorI9row_indexNS9_17counting_iteratorImNS9_11use_defaultESD_SD_EESD_SD_EENS9_6detail15normal_iteratorINS9_10device_ptrIiEEEESK_iNS9_4plusIvEENS9_8equal_toIvEEiEE10hipError_tPvRmT2_T3_T4_T5_mT6_T7_P12ihipStream_tbENKUlT_T0_E_clISt17integral_constantIbLb1EES14_IbLb0EEEEDaS10_S11_EUlS10_E_NS1_11comp_targetILNS1_3genE2ELNS1_11target_archE906ELNS1_3gpuE6ELNS1_3repE0EEENS1_30default_config_static_selectorELNS0_4arch9wavefront6targetE0EEEvT1_ ; -- Begin function _ZN7rocprim17ROCPRIM_400000_NS6detail17trampoline_kernelINS0_14default_configENS1_27scan_by_key_config_selectorImiEEZZNS1_16scan_by_key_implILNS1_25lookback_scan_determinismE0ELb0ES3_N6thrust23THRUST_200600_302600_NS18transform_iteratorI9row_indexNS9_17counting_iteratorImNS9_11use_defaultESD_SD_EESD_SD_EENS9_6detail15normal_iteratorINS9_10device_ptrIiEEEESK_iNS9_4plusIvEENS9_8equal_toIvEEiEE10hipError_tPvRmT2_T3_T4_T5_mT6_T7_P12ihipStream_tbENKUlT_T0_E_clISt17integral_constantIbLb1EES14_IbLb0EEEEDaS10_S11_EUlS10_E_NS1_11comp_targetILNS1_3genE2ELNS1_11target_archE906ELNS1_3gpuE6ELNS1_3repE0EEENS1_30default_config_static_selectorELNS0_4arch9wavefront6targetE0EEEvT1_
	.globl	_ZN7rocprim17ROCPRIM_400000_NS6detail17trampoline_kernelINS0_14default_configENS1_27scan_by_key_config_selectorImiEEZZNS1_16scan_by_key_implILNS1_25lookback_scan_determinismE0ELb0ES3_N6thrust23THRUST_200600_302600_NS18transform_iteratorI9row_indexNS9_17counting_iteratorImNS9_11use_defaultESD_SD_EESD_SD_EENS9_6detail15normal_iteratorINS9_10device_ptrIiEEEESK_iNS9_4plusIvEENS9_8equal_toIvEEiEE10hipError_tPvRmT2_T3_T4_T5_mT6_T7_P12ihipStream_tbENKUlT_T0_E_clISt17integral_constantIbLb1EES14_IbLb0EEEEDaS10_S11_EUlS10_E_NS1_11comp_targetILNS1_3genE2ELNS1_11target_archE906ELNS1_3gpuE6ELNS1_3repE0EEENS1_30default_config_static_selectorELNS0_4arch9wavefront6targetE0EEEvT1_
	.p2align	8
	.type	_ZN7rocprim17ROCPRIM_400000_NS6detail17trampoline_kernelINS0_14default_configENS1_27scan_by_key_config_selectorImiEEZZNS1_16scan_by_key_implILNS1_25lookback_scan_determinismE0ELb0ES3_N6thrust23THRUST_200600_302600_NS18transform_iteratorI9row_indexNS9_17counting_iteratorImNS9_11use_defaultESD_SD_EESD_SD_EENS9_6detail15normal_iteratorINS9_10device_ptrIiEEEESK_iNS9_4plusIvEENS9_8equal_toIvEEiEE10hipError_tPvRmT2_T3_T4_T5_mT6_T7_P12ihipStream_tbENKUlT_T0_E_clISt17integral_constantIbLb1EES14_IbLb0EEEEDaS10_S11_EUlS10_E_NS1_11comp_targetILNS1_3genE2ELNS1_11target_archE906ELNS1_3gpuE6ELNS1_3repE0EEENS1_30default_config_static_selectorELNS0_4arch9wavefront6targetE0EEEvT1_,@function
_ZN7rocprim17ROCPRIM_400000_NS6detail17trampoline_kernelINS0_14default_configENS1_27scan_by_key_config_selectorImiEEZZNS1_16scan_by_key_implILNS1_25lookback_scan_determinismE0ELb0ES3_N6thrust23THRUST_200600_302600_NS18transform_iteratorI9row_indexNS9_17counting_iteratorImNS9_11use_defaultESD_SD_EESD_SD_EENS9_6detail15normal_iteratorINS9_10device_ptrIiEEEESK_iNS9_4plusIvEENS9_8equal_toIvEEiEE10hipError_tPvRmT2_T3_T4_T5_mT6_T7_P12ihipStream_tbENKUlT_T0_E_clISt17integral_constantIbLb1EES14_IbLb0EEEEDaS10_S11_EUlS10_E_NS1_11comp_targetILNS1_3genE2ELNS1_11target_archE906ELNS1_3gpuE6ELNS1_3repE0EEENS1_30default_config_static_selectorELNS0_4arch9wavefront6targetE0EEEvT1_: ; @_ZN7rocprim17ROCPRIM_400000_NS6detail17trampoline_kernelINS0_14default_configENS1_27scan_by_key_config_selectorImiEEZZNS1_16scan_by_key_implILNS1_25lookback_scan_determinismE0ELb0ES3_N6thrust23THRUST_200600_302600_NS18transform_iteratorI9row_indexNS9_17counting_iteratorImNS9_11use_defaultESD_SD_EESD_SD_EENS9_6detail15normal_iteratorINS9_10device_ptrIiEEEESK_iNS9_4plusIvEENS9_8equal_toIvEEiEE10hipError_tPvRmT2_T3_T4_T5_mT6_T7_P12ihipStream_tbENKUlT_T0_E_clISt17integral_constantIbLb1EES14_IbLb0EEEEDaS10_S11_EUlS10_E_NS1_11comp_targetILNS1_3genE2ELNS1_11target_archE906ELNS1_3gpuE6ELNS1_3repE0EEENS1_30default_config_static_selectorELNS0_4arch9wavefront6targetE0EEEvT1_
; %bb.0:
	.section	.rodata,"a",@progbits
	.p2align	6, 0x0
	.amdhsa_kernel _ZN7rocprim17ROCPRIM_400000_NS6detail17trampoline_kernelINS0_14default_configENS1_27scan_by_key_config_selectorImiEEZZNS1_16scan_by_key_implILNS1_25lookback_scan_determinismE0ELb0ES3_N6thrust23THRUST_200600_302600_NS18transform_iteratorI9row_indexNS9_17counting_iteratorImNS9_11use_defaultESD_SD_EESD_SD_EENS9_6detail15normal_iteratorINS9_10device_ptrIiEEEESK_iNS9_4plusIvEENS9_8equal_toIvEEiEE10hipError_tPvRmT2_T3_T4_T5_mT6_T7_P12ihipStream_tbENKUlT_T0_E_clISt17integral_constantIbLb1EES14_IbLb0EEEEDaS10_S11_EUlS10_E_NS1_11comp_targetILNS1_3genE2ELNS1_11target_archE906ELNS1_3gpuE6ELNS1_3repE0EEENS1_30default_config_static_selectorELNS0_4arch9wavefront6targetE0EEEvT1_
		.amdhsa_group_segment_fixed_size 0
		.amdhsa_private_segment_fixed_size 0
		.amdhsa_kernarg_size 120
		.amdhsa_user_sgpr_count 15
		.amdhsa_user_sgpr_dispatch_ptr 0
		.amdhsa_user_sgpr_queue_ptr 0
		.amdhsa_user_sgpr_kernarg_segment_ptr 1
		.amdhsa_user_sgpr_dispatch_id 0
		.amdhsa_user_sgpr_private_segment_size 0
		.amdhsa_wavefront_size32 1
		.amdhsa_uses_dynamic_stack 0
		.amdhsa_enable_private_segment 0
		.amdhsa_system_sgpr_workgroup_id_x 1
		.amdhsa_system_sgpr_workgroup_id_y 0
		.amdhsa_system_sgpr_workgroup_id_z 0
		.amdhsa_system_sgpr_workgroup_info 0
		.amdhsa_system_vgpr_workitem_id 0
		.amdhsa_next_free_vgpr 1
		.amdhsa_next_free_sgpr 1
		.amdhsa_reserve_vcc 0
		.amdhsa_float_round_mode_32 0
		.amdhsa_float_round_mode_16_64 0
		.amdhsa_float_denorm_mode_32 3
		.amdhsa_float_denorm_mode_16_64 3
		.amdhsa_dx10_clamp 1
		.amdhsa_ieee_mode 1
		.amdhsa_fp16_overflow 0
		.amdhsa_workgroup_processor_mode 1
		.amdhsa_memory_ordered 1
		.amdhsa_forward_progress 0
		.amdhsa_shared_vgpr_count 0
		.amdhsa_exception_fp_ieee_invalid_op 0
		.amdhsa_exception_fp_denorm_src 0
		.amdhsa_exception_fp_ieee_div_zero 0
		.amdhsa_exception_fp_ieee_overflow 0
		.amdhsa_exception_fp_ieee_underflow 0
		.amdhsa_exception_fp_ieee_inexact 0
		.amdhsa_exception_int_div_zero 0
	.end_amdhsa_kernel
	.section	.text._ZN7rocprim17ROCPRIM_400000_NS6detail17trampoline_kernelINS0_14default_configENS1_27scan_by_key_config_selectorImiEEZZNS1_16scan_by_key_implILNS1_25lookback_scan_determinismE0ELb0ES3_N6thrust23THRUST_200600_302600_NS18transform_iteratorI9row_indexNS9_17counting_iteratorImNS9_11use_defaultESD_SD_EESD_SD_EENS9_6detail15normal_iteratorINS9_10device_ptrIiEEEESK_iNS9_4plusIvEENS9_8equal_toIvEEiEE10hipError_tPvRmT2_T3_T4_T5_mT6_T7_P12ihipStream_tbENKUlT_T0_E_clISt17integral_constantIbLb1EES14_IbLb0EEEEDaS10_S11_EUlS10_E_NS1_11comp_targetILNS1_3genE2ELNS1_11target_archE906ELNS1_3gpuE6ELNS1_3repE0EEENS1_30default_config_static_selectorELNS0_4arch9wavefront6targetE0EEEvT1_,"axG",@progbits,_ZN7rocprim17ROCPRIM_400000_NS6detail17trampoline_kernelINS0_14default_configENS1_27scan_by_key_config_selectorImiEEZZNS1_16scan_by_key_implILNS1_25lookback_scan_determinismE0ELb0ES3_N6thrust23THRUST_200600_302600_NS18transform_iteratorI9row_indexNS9_17counting_iteratorImNS9_11use_defaultESD_SD_EESD_SD_EENS9_6detail15normal_iteratorINS9_10device_ptrIiEEEESK_iNS9_4plusIvEENS9_8equal_toIvEEiEE10hipError_tPvRmT2_T3_T4_T5_mT6_T7_P12ihipStream_tbENKUlT_T0_E_clISt17integral_constantIbLb1EES14_IbLb0EEEEDaS10_S11_EUlS10_E_NS1_11comp_targetILNS1_3genE2ELNS1_11target_archE906ELNS1_3gpuE6ELNS1_3repE0EEENS1_30default_config_static_selectorELNS0_4arch9wavefront6targetE0EEEvT1_,comdat
.Lfunc_end30:
	.size	_ZN7rocprim17ROCPRIM_400000_NS6detail17trampoline_kernelINS0_14default_configENS1_27scan_by_key_config_selectorImiEEZZNS1_16scan_by_key_implILNS1_25lookback_scan_determinismE0ELb0ES3_N6thrust23THRUST_200600_302600_NS18transform_iteratorI9row_indexNS9_17counting_iteratorImNS9_11use_defaultESD_SD_EESD_SD_EENS9_6detail15normal_iteratorINS9_10device_ptrIiEEEESK_iNS9_4plusIvEENS9_8equal_toIvEEiEE10hipError_tPvRmT2_T3_T4_T5_mT6_T7_P12ihipStream_tbENKUlT_T0_E_clISt17integral_constantIbLb1EES14_IbLb0EEEEDaS10_S11_EUlS10_E_NS1_11comp_targetILNS1_3genE2ELNS1_11target_archE906ELNS1_3gpuE6ELNS1_3repE0EEENS1_30default_config_static_selectorELNS0_4arch9wavefront6targetE0EEEvT1_, .Lfunc_end30-_ZN7rocprim17ROCPRIM_400000_NS6detail17trampoline_kernelINS0_14default_configENS1_27scan_by_key_config_selectorImiEEZZNS1_16scan_by_key_implILNS1_25lookback_scan_determinismE0ELb0ES3_N6thrust23THRUST_200600_302600_NS18transform_iteratorI9row_indexNS9_17counting_iteratorImNS9_11use_defaultESD_SD_EESD_SD_EENS9_6detail15normal_iteratorINS9_10device_ptrIiEEEESK_iNS9_4plusIvEENS9_8equal_toIvEEiEE10hipError_tPvRmT2_T3_T4_T5_mT6_T7_P12ihipStream_tbENKUlT_T0_E_clISt17integral_constantIbLb1EES14_IbLb0EEEEDaS10_S11_EUlS10_E_NS1_11comp_targetILNS1_3genE2ELNS1_11target_archE906ELNS1_3gpuE6ELNS1_3repE0EEENS1_30default_config_static_selectorELNS0_4arch9wavefront6targetE0EEEvT1_
                                        ; -- End function
	.section	.AMDGPU.csdata,"",@progbits
; Kernel info:
; codeLenInByte = 0
; NumSgprs: 0
; NumVgprs: 0
; ScratchSize: 0
; MemoryBound: 0
; FloatMode: 240
; IeeeMode: 1
; LDSByteSize: 0 bytes/workgroup (compile time only)
; SGPRBlocks: 0
; VGPRBlocks: 0
; NumSGPRsForWavesPerEU: 1
; NumVGPRsForWavesPerEU: 1
; Occupancy: 16
; WaveLimiterHint : 0
; COMPUTE_PGM_RSRC2:SCRATCH_EN: 0
; COMPUTE_PGM_RSRC2:USER_SGPR: 15
; COMPUTE_PGM_RSRC2:TRAP_HANDLER: 0
; COMPUTE_PGM_RSRC2:TGID_X_EN: 1
; COMPUTE_PGM_RSRC2:TGID_Y_EN: 0
; COMPUTE_PGM_RSRC2:TGID_Z_EN: 0
; COMPUTE_PGM_RSRC2:TIDIG_COMP_CNT: 0
	.section	.text._ZN7rocprim17ROCPRIM_400000_NS6detail17trampoline_kernelINS0_14default_configENS1_27scan_by_key_config_selectorImiEEZZNS1_16scan_by_key_implILNS1_25lookback_scan_determinismE0ELb0ES3_N6thrust23THRUST_200600_302600_NS18transform_iteratorI9row_indexNS9_17counting_iteratorImNS9_11use_defaultESD_SD_EESD_SD_EENS9_6detail15normal_iteratorINS9_10device_ptrIiEEEESK_iNS9_4plusIvEENS9_8equal_toIvEEiEE10hipError_tPvRmT2_T3_T4_T5_mT6_T7_P12ihipStream_tbENKUlT_T0_E_clISt17integral_constantIbLb1EES14_IbLb0EEEEDaS10_S11_EUlS10_E_NS1_11comp_targetILNS1_3genE10ELNS1_11target_archE1200ELNS1_3gpuE4ELNS1_3repE0EEENS1_30default_config_static_selectorELNS0_4arch9wavefront6targetE0EEEvT1_,"axG",@progbits,_ZN7rocprim17ROCPRIM_400000_NS6detail17trampoline_kernelINS0_14default_configENS1_27scan_by_key_config_selectorImiEEZZNS1_16scan_by_key_implILNS1_25lookback_scan_determinismE0ELb0ES3_N6thrust23THRUST_200600_302600_NS18transform_iteratorI9row_indexNS9_17counting_iteratorImNS9_11use_defaultESD_SD_EESD_SD_EENS9_6detail15normal_iteratorINS9_10device_ptrIiEEEESK_iNS9_4plusIvEENS9_8equal_toIvEEiEE10hipError_tPvRmT2_T3_T4_T5_mT6_T7_P12ihipStream_tbENKUlT_T0_E_clISt17integral_constantIbLb1EES14_IbLb0EEEEDaS10_S11_EUlS10_E_NS1_11comp_targetILNS1_3genE10ELNS1_11target_archE1200ELNS1_3gpuE4ELNS1_3repE0EEENS1_30default_config_static_selectorELNS0_4arch9wavefront6targetE0EEEvT1_,comdat
	.protected	_ZN7rocprim17ROCPRIM_400000_NS6detail17trampoline_kernelINS0_14default_configENS1_27scan_by_key_config_selectorImiEEZZNS1_16scan_by_key_implILNS1_25lookback_scan_determinismE0ELb0ES3_N6thrust23THRUST_200600_302600_NS18transform_iteratorI9row_indexNS9_17counting_iteratorImNS9_11use_defaultESD_SD_EESD_SD_EENS9_6detail15normal_iteratorINS9_10device_ptrIiEEEESK_iNS9_4plusIvEENS9_8equal_toIvEEiEE10hipError_tPvRmT2_T3_T4_T5_mT6_T7_P12ihipStream_tbENKUlT_T0_E_clISt17integral_constantIbLb1EES14_IbLb0EEEEDaS10_S11_EUlS10_E_NS1_11comp_targetILNS1_3genE10ELNS1_11target_archE1200ELNS1_3gpuE4ELNS1_3repE0EEENS1_30default_config_static_selectorELNS0_4arch9wavefront6targetE0EEEvT1_ ; -- Begin function _ZN7rocprim17ROCPRIM_400000_NS6detail17trampoline_kernelINS0_14default_configENS1_27scan_by_key_config_selectorImiEEZZNS1_16scan_by_key_implILNS1_25lookback_scan_determinismE0ELb0ES3_N6thrust23THRUST_200600_302600_NS18transform_iteratorI9row_indexNS9_17counting_iteratorImNS9_11use_defaultESD_SD_EESD_SD_EENS9_6detail15normal_iteratorINS9_10device_ptrIiEEEESK_iNS9_4plusIvEENS9_8equal_toIvEEiEE10hipError_tPvRmT2_T3_T4_T5_mT6_T7_P12ihipStream_tbENKUlT_T0_E_clISt17integral_constantIbLb1EES14_IbLb0EEEEDaS10_S11_EUlS10_E_NS1_11comp_targetILNS1_3genE10ELNS1_11target_archE1200ELNS1_3gpuE4ELNS1_3repE0EEENS1_30default_config_static_selectorELNS0_4arch9wavefront6targetE0EEEvT1_
	.globl	_ZN7rocprim17ROCPRIM_400000_NS6detail17trampoline_kernelINS0_14default_configENS1_27scan_by_key_config_selectorImiEEZZNS1_16scan_by_key_implILNS1_25lookback_scan_determinismE0ELb0ES3_N6thrust23THRUST_200600_302600_NS18transform_iteratorI9row_indexNS9_17counting_iteratorImNS9_11use_defaultESD_SD_EESD_SD_EENS9_6detail15normal_iteratorINS9_10device_ptrIiEEEESK_iNS9_4plusIvEENS9_8equal_toIvEEiEE10hipError_tPvRmT2_T3_T4_T5_mT6_T7_P12ihipStream_tbENKUlT_T0_E_clISt17integral_constantIbLb1EES14_IbLb0EEEEDaS10_S11_EUlS10_E_NS1_11comp_targetILNS1_3genE10ELNS1_11target_archE1200ELNS1_3gpuE4ELNS1_3repE0EEENS1_30default_config_static_selectorELNS0_4arch9wavefront6targetE0EEEvT1_
	.p2align	8
	.type	_ZN7rocprim17ROCPRIM_400000_NS6detail17trampoline_kernelINS0_14default_configENS1_27scan_by_key_config_selectorImiEEZZNS1_16scan_by_key_implILNS1_25lookback_scan_determinismE0ELb0ES3_N6thrust23THRUST_200600_302600_NS18transform_iteratorI9row_indexNS9_17counting_iteratorImNS9_11use_defaultESD_SD_EESD_SD_EENS9_6detail15normal_iteratorINS9_10device_ptrIiEEEESK_iNS9_4plusIvEENS9_8equal_toIvEEiEE10hipError_tPvRmT2_T3_T4_T5_mT6_T7_P12ihipStream_tbENKUlT_T0_E_clISt17integral_constantIbLb1EES14_IbLb0EEEEDaS10_S11_EUlS10_E_NS1_11comp_targetILNS1_3genE10ELNS1_11target_archE1200ELNS1_3gpuE4ELNS1_3repE0EEENS1_30default_config_static_selectorELNS0_4arch9wavefront6targetE0EEEvT1_,@function
_ZN7rocprim17ROCPRIM_400000_NS6detail17trampoline_kernelINS0_14default_configENS1_27scan_by_key_config_selectorImiEEZZNS1_16scan_by_key_implILNS1_25lookback_scan_determinismE0ELb0ES3_N6thrust23THRUST_200600_302600_NS18transform_iteratorI9row_indexNS9_17counting_iteratorImNS9_11use_defaultESD_SD_EESD_SD_EENS9_6detail15normal_iteratorINS9_10device_ptrIiEEEESK_iNS9_4plusIvEENS9_8equal_toIvEEiEE10hipError_tPvRmT2_T3_T4_T5_mT6_T7_P12ihipStream_tbENKUlT_T0_E_clISt17integral_constantIbLb1EES14_IbLb0EEEEDaS10_S11_EUlS10_E_NS1_11comp_targetILNS1_3genE10ELNS1_11target_archE1200ELNS1_3gpuE4ELNS1_3repE0EEENS1_30default_config_static_selectorELNS0_4arch9wavefront6targetE0EEEvT1_: ; @_ZN7rocprim17ROCPRIM_400000_NS6detail17trampoline_kernelINS0_14default_configENS1_27scan_by_key_config_selectorImiEEZZNS1_16scan_by_key_implILNS1_25lookback_scan_determinismE0ELb0ES3_N6thrust23THRUST_200600_302600_NS18transform_iteratorI9row_indexNS9_17counting_iteratorImNS9_11use_defaultESD_SD_EESD_SD_EENS9_6detail15normal_iteratorINS9_10device_ptrIiEEEESK_iNS9_4plusIvEENS9_8equal_toIvEEiEE10hipError_tPvRmT2_T3_T4_T5_mT6_T7_P12ihipStream_tbENKUlT_T0_E_clISt17integral_constantIbLb1EES14_IbLb0EEEEDaS10_S11_EUlS10_E_NS1_11comp_targetILNS1_3genE10ELNS1_11target_archE1200ELNS1_3gpuE4ELNS1_3repE0EEENS1_30default_config_static_selectorELNS0_4arch9wavefront6targetE0EEEvT1_
; %bb.0:
	.section	.rodata,"a",@progbits
	.p2align	6, 0x0
	.amdhsa_kernel _ZN7rocprim17ROCPRIM_400000_NS6detail17trampoline_kernelINS0_14default_configENS1_27scan_by_key_config_selectorImiEEZZNS1_16scan_by_key_implILNS1_25lookback_scan_determinismE0ELb0ES3_N6thrust23THRUST_200600_302600_NS18transform_iteratorI9row_indexNS9_17counting_iteratorImNS9_11use_defaultESD_SD_EESD_SD_EENS9_6detail15normal_iteratorINS9_10device_ptrIiEEEESK_iNS9_4plusIvEENS9_8equal_toIvEEiEE10hipError_tPvRmT2_T3_T4_T5_mT6_T7_P12ihipStream_tbENKUlT_T0_E_clISt17integral_constantIbLb1EES14_IbLb0EEEEDaS10_S11_EUlS10_E_NS1_11comp_targetILNS1_3genE10ELNS1_11target_archE1200ELNS1_3gpuE4ELNS1_3repE0EEENS1_30default_config_static_selectorELNS0_4arch9wavefront6targetE0EEEvT1_
		.amdhsa_group_segment_fixed_size 0
		.amdhsa_private_segment_fixed_size 0
		.amdhsa_kernarg_size 120
		.amdhsa_user_sgpr_count 15
		.amdhsa_user_sgpr_dispatch_ptr 0
		.amdhsa_user_sgpr_queue_ptr 0
		.amdhsa_user_sgpr_kernarg_segment_ptr 1
		.amdhsa_user_sgpr_dispatch_id 0
		.amdhsa_user_sgpr_private_segment_size 0
		.amdhsa_wavefront_size32 1
		.amdhsa_uses_dynamic_stack 0
		.amdhsa_enable_private_segment 0
		.amdhsa_system_sgpr_workgroup_id_x 1
		.amdhsa_system_sgpr_workgroup_id_y 0
		.amdhsa_system_sgpr_workgroup_id_z 0
		.amdhsa_system_sgpr_workgroup_info 0
		.amdhsa_system_vgpr_workitem_id 0
		.amdhsa_next_free_vgpr 1
		.amdhsa_next_free_sgpr 1
		.amdhsa_reserve_vcc 0
		.amdhsa_float_round_mode_32 0
		.amdhsa_float_round_mode_16_64 0
		.amdhsa_float_denorm_mode_32 3
		.amdhsa_float_denorm_mode_16_64 3
		.amdhsa_dx10_clamp 1
		.amdhsa_ieee_mode 1
		.amdhsa_fp16_overflow 0
		.amdhsa_workgroup_processor_mode 1
		.amdhsa_memory_ordered 1
		.amdhsa_forward_progress 0
		.amdhsa_shared_vgpr_count 0
		.amdhsa_exception_fp_ieee_invalid_op 0
		.amdhsa_exception_fp_denorm_src 0
		.amdhsa_exception_fp_ieee_div_zero 0
		.amdhsa_exception_fp_ieee_overflow 0
		.amdhsa_exception_fp_ieee_underflow 0
		.amdhsa_exception_fp_ieee_inexact 0
		.amdhsa_exception_int_div_zero 0
	.end_amdhsa_kernel
	.section	.text._ZN7rocprim17ROCPRIM_400000_NS6detail17trampoline_kernelINS0_14default_configENS1_27scan_by_key_config_selectorImiEEZZNS1_16scan_by_key_implILNS1_25lookback_scan_determinismE0ELb0ES3_N6thrust23THRUST_200600_302600_NS18transform_iteratorI9row_indexNS9_17counting_iteratorImNS9_11use_defaultESD_SD_EESD_SD_EENS9_6detail15normal_iteratorINS9_10device_ptrIiEEEESK_iNS9_4plusIvEENS9_8equal_toIvEEiEE10hipError_tPvRmT2_T3_T4_T5_mT6_T7_P12ihipStream_tbENKUlT_T0_E_clISt17integral_constantIbLb1EES14_IbLb0EEEEDaS10_S11_EUlS10_E_NS1_11comp_targetILNS1_3genE10ELNS1_11target_archE1200ELNS1_3gpuE4ELNS1_3repE0EEENS1_30default_config_static_selectorELNS0_4arch9wavefront6targetE0EEEvT1_,"axG",@progbits,_ZN7rocprim17ROCPRIM_400000_NS6detail17trampoline_kernelINS0_14default_configENS1_27scan_by_key_config_selectorImiEEZZNS1_16scan_by_key_implILNS1_25lookback_scan_determinismE0ELb0ES3_N6thrust23THRUST_200600_302600_NS18transform_iteratorI9row_indexNS9_17counting_iteratorImNS9_11use_defaultESD_SD_EESD_SD_EENS9_6detail15normal_iteratorINS9_10device_ptrIiEEEESK_iNS9_4plusIvEENS9_8equal_toIvEEiEE10hipError_tPvRmT2_T3_T4_T5_mT6_T7_P12ihipStream_tbENKUlT_T0_E_clISt17integral_constantIbLb1EES14_IbLb0EEEEDaS10_S11_EUlS10_E_NS1_11comp_targetILNS1_3genE10ELNS1_11target_archE1200ELNS1_3gpuE4ELNS1_3repE0EEENS1_30default_config_static_selectorELNS0_4arch9wavefront6targetE0EEEvT1_,comdat
.Lfunc_end31:
	.size	_ZN7rocprim17ROCPRIM_400000_NS6detail17trampoline_kernelINS0_14default_configENS1_27scan_by_key_config_selectorImiEEZZNS1_16scan_by_key_implILNS1_25lookback_scan_determinismE0ELb0ES3_N6thrust23THRUST_200600_302600_NS18transform_iteratorI9row_indexNS9_17counting_iteratorImNS9_11use_defaultESD_SD_EESD_SD_EENS9_6detail15normal_iteratorINS9_10device_ptrIiEEEESK_iNS9_4plusIvEENS9_8equal_toIvEEiEE10hipError_tPvRmT2_T3_T4_T5_mT6_T7_P12ihipStream_tbENKUlT_T0_E_clISt17integral_constantIbLb1EES14_IbLb0EEEEDaS10_S11_EUlS10_E_NS1_11comp_targetILNS1_3genE10ELNS1_11target_archE1200ELNS1_3gpuE4ELNS1_3repE0EEENS1_30default_config_static_selectorELNS0_4arch9wavefront6targetE0EEEvT1_, .Lfunc_end31-_ZN7rocprim17ROCPRIM_400000_NS6detail17trampoline_kernelINS0_14default_configENS1_27scan_by_key_config_selectorImiEEZZNS1_16scan_by_key_implILNS1_25lookback_scan_determinismE0ELb0ES3_N6thrust23THRUST_200600_302600_NS18transform_iteratorI9row_indexNS9_17counting_iteratorImNS9_11use_defaultESD_SD_EESD_SD_EENS9_6detail15normal_iteratorINS9_10device_ptrIiEEEESK_iNS9_4plusIvEENS9_8equal_toIvEEiEE10hipError_tPvRmT2_T3_T4_T5_mT6_T7_P12ihipStream_tbENKUlT_T0_E_clISt17integral_constantIbLb1EES14_IbLb0EEEEDaS10_S11_EUlS10_E_NS1_11comp_targetILNS1_3genE10ELNS1_11target_archE1200ELNS1_3gpuE4ELNS1_3repE0EEENS1_30default_config_static_selectorELNS0_4arch9wavefront6targetE0EEEvT1_
                                        ; -- End function
	.section	.AMDGPU.csdata,"",@progbits
; Kernel info:
; codeLenInByte = 0
; NumSgprs: 0
; NumVgprs: 0
; ScratchSize: 0
; MemoryBound: 0
; FloatMode: 240
; IeeeMode: 1
; LDSByteSize: 0 bytes/workgroup (compile time only)
; SGPRBlocks: 0
; VGPRBlocks: 0
; NumSGPRsForWavesPerEU: 1
; NumVGPRsForWavesPerEU: 1
; Occupancy: 16
; WaveLimiterHint : 0
; COMPUTE_PGM_RSRC2:SCRATCH_EN: 0
; COMPUTE_PGM_RSRC2:USER_SGPR: 15
; COMPUTE_PGM_RSRC2:TRAP_HANDLER: 0
; COMPUTE_PGM_RSRC2:TGID_X_EN: 1
; COMPUTE_PGM_RSRC2:TGID_Y_EN: 0
; COMPUTE_PGM_RSRC2:TGID_Z_EN: 0
; COMPUTE_PGM_RSRC2:TIDIG_COMP_CNT: 0
	.section	.text._ZN7rocprim17ROCPRIM_400000_NS6detail17trampoline_kernelINS0_14default_configENS1_27scan_by_key_config_selectorImiEEZZNS1_16scan_by_key_implILNS1_25lookback_scan_determinismE0ELb0ES3_N6thrust23THRUST_200600_302600_NS18transform_iteratorI9row_indexNS9_17counting_iteratorImNS9_11use_defaultESD_SD_EESD_SD_EENS9_6detail15normal_iteratorINS9_10device_ptrIiEEEESK_iNS9_4plusIvEENS9_8equal_toIvEEiEE10hipError_tPvRmT2_T3_T4_T5_mT6_T7_P12ihipStream_tbENKUlT_T0_E_clISt17integral_constantIbLb1EES14_IbLb0EEEEDaS10_S11_EUlS10_E_NS1_11comp_targetILNS1_3genE9ELNS1_11target_archE1100ELNS1_3gpuE3ELNS1_3repE0EEENS1_30default_config_static_selectorELNS0_4arch9wavefront6targetE0EEEvT1_,"axG",@progbits,_ZN7rocprim17ROCPRIM_400000_NS6detail17trampoline_kernelINS0_14default_configENS1_27scan_by_key_config_selectorImiEEZZNS1_16scan_by_key_implILNS1_25lookback_scan_determinismE0ELb0ES3_N6thrust23THRUST_200600_302600_NS18transform_iteratorI9row_indexNS9_17counting_iteratorImNS9_11use_defaultESD_SD_EESD_SD_EENS9_6detail15normal_iteratorINS9_10device_ptrIiEEEESK_iNS9_4plusIvEENS9_8equal_toIvEEiEE10hipError_tPvRmT2_T3_T4_T5_mT6_T7_P12ihipStream_tbENKUlT_T0_E_clISt17integral_constantIbLb1EES14_IbLb0EEEEDaS10_S11_EUlS10_E_NS1_11comp_targetILNS1_3genE9ELNS1_11target_archE1100ELNS1_3gpuE3ELNS1_3repE0EEENS1_30default_config_static_selectorELNS0_4arch9wavefront6targetE0EEEvT1_,comdat
	.protected	_ZN7rocprim17ROCPRIM_400000_NS6detail17trampoline_kernelINS0_14default_configENS1_27scan_by_key_config_selectorImiEEZZNS1_16scan_by_key_implILNS1_25lookback_scan_determinismE0ELb0ES3_N6thrust23THRUST_200600_302600_NS18transform_iteratorI9row_indexNS9_17counting_iteratorImNS9_11use_defaultESD_SD_EESD_SD_EENS9_6detail15normal_iteratorINS9_10device_ptrIiEEEESK_iNS9_4plusIvEENS9_8equal_toIvEEiEE10hipError_tPvRmT2_T3_T4_T5_mT6_T7_P12ihipStream_tbENKUlT_T0_E_clISt17integral_constantIbLb1EES14_IbLb0EEEEDaS10_S11_EUlS10_E_NS1_11comp_targetILNS1_3genE9ELNS1_11target_archE1100ELNS1_3gpuE3ELNS1_3repE0EEENS1_30default_config_static_selectorELNS0_4arch9wavefront6targetE0EEEvT1_ ; -- Begin function _ZN7rocprim17ROCPRIM_400000_NS6detail17trampoline_kernelINS0_14default_configENS1_27scan_by_key_config_selectorImiEEZZNS1_16scan_by_key_implILNS1_25lookback_scan_determinismE0ELb0ES3_N6thrust23THRUST_200600_302600_NS18transform_iteratorI9row_indexNS9_17counting_iteratorImNS9_11use_defaultESD_SD_EESD_SD_EENS9_6detail15normal_iteratorINS9_10device_ptrIiEEEESK_iNS9_4plusIvEENS9_8equal_toIvEEiEE10hipError_tPvRmT2_T3_T4_T5_mT6_T7_P12ihipStream_tbENKUlT_T0_E_clISt17integral_constantIbLb1EES14_IbLb0EEEEDaS10_S11_EUlS10_E_NS1_11comp_targetILNS1_3genE9ELNS1_11target_archE1100ELNS1_3gpuE3ELNS1_3repE0EEENS1_30default_config_static_selectorELNS0_4arch9wavefront6targetE0EEEvT1_
	.globl	_ZN7rocprim17ROCPRIM_400000_NS6detail17trampoline_kernelINS0_14default_configENS1_27scan_by_key_config_selectorImiEEZZNS1_16scan_by_key_implILNS1_25lookback_scan_determinismE0ELb0ES3_N6thrust23THRUST_200600_302600_NS18transform_iteratorI9row_indexNS9_17counting_iteratorImNS9_11use_defaultESD_SD_EESD_SD_EENS9_6detail15normal_iteratorINS9_10device_ptrIiEEEESK_iNS9_4plusIvEENS9_8equal_toIvEEiEE10hipError_tPvRmT2_T3_T4_T5_mT6_T7_P12ihipStream_tbENKUlT_T0_E_clISt17integral_constantIbLb1EES14_IbLb0EEEEDaS10_S11_EUlS10_E_NS1_11comp_targetILNS1_3genE9ELNS1_11target_archE1100ELNS1_3gpuE3ELNS1_3repE0EEENS1_30default_config_static_selectorELNS0_4arch9wavefront6targetE0EEEvT1_
	.p2align	8
	.type	_ZN7rocprim17ROCPRIM_400000_NS6detail17trampoline_kernelINS0_14default_configENS1_27scan_by_key_config_selectorImiEEZZNS1_16scan_by_key_implILNS1_25lookback_scan_determinismE0ELb0ES3_N6thrust23THRUST_200600_302600_NS18transform_iteratorI9row_indexNS9_17counting_iteratorImNS9_11use_defaultESD_SD_EESD_SD_EENS9_6detail15normal_iteratorINS9_10device_ptrIiEEEESK_iNS9_4plusIvEENS9_8equal_toIvEEiEE10hipError_tPvRmT2_T3_T4_T5_mT6_T7_P12ihipStream_tbENKUlT_T0_E_clISt17integral_constantIbLb1EES14_IbLb0EEEEDaS10_S11_EUlS10_E_NS1_11comp_targetILNS1_3genE9ELNS1_11target_archE1100ELNS1_3gpuE3ELNS1_3repE0EEENS1_30default_config_static_selectorELNS0_4arch9wavefront6targetE0EEEvT1_,@function
_ZN7rocprim17ROCPRIM_400000_NS6detail17trampoline_kernelINS0_14default_configENS1_27scan_by_key_config_selectorImiEEZZNS1_16scan_by_key_implILNS1_25lookback_scan_determinismE0ELb0ES3_N6thrust23THRUST_200600_302600_NS18transform_iteratorI9row_indexNS9_17counting_iteratorImNS9_11use_defaultESD_SD_EESD_SD_EENS9_6detail15normal_iteratorINS9_10device_ptrIiEEEESK_iNS9_4plusIvEENS9_8equal_toIvEEiEE10hipError_tPvRmT2_T3_T4_T5_mT6_T7_P12ihipStream_tbENKUlT_T0_E_clISt17integral_constantIbLb1EES14_IbLb0EEEEDaS10_S11_EUlS10_E_NS1_11comp_targetILNS1_3genE9ELNS1_11target_archE1100ELNS1_3gpuE3ELNS1_3repE0EEENS1_30default_config_static_selectorELNS0_4arch9wavefront6targetE0EEEvT1_: ; @_ZN7rocprim17ROCPRIM_400000_NS6detail17trampoline_kernelINS0_14default_configENS1_27scan_by_key_config_selectorImiEEZZNS1_16scan_by_key_implILNS1_25lookback_scan_determinismE0ELb0ES3_N6thrust23THRUST_200600_302600_NS18transform_iteratorI9row_indexNS9_17counting_iteratorImNS9_11use_defaultESD_SD_EESD_SD_EENS9_6detail15normal_iteratorINS9_10device_ptrIiEEEESK_iNS9_4plusIvEENS9_8equal_toIvEEiEE10hipError_tPvRmT2_T3_T4_T5_mT6_T7_P12ihipStream_tbENKUlT_T0_E_clISt17integral_constantIbLb1EES14_IbLb0EEEEDaS10_S11_EUlS10_E_NS1_11comp_targetILNS1_3genE9ELNS1_11target_archE1100ELNS1_3gpuE3ELNS1_3repE0EEENS1_30default_config_static_selectorELNS0_4arch9wavefront6targetE0EEEvT1_
; %bb.0:
	s_clause 0x4
	s_load_b256 s[36:43], s[0:1], 0x0
	s_load_b64 s[44:45], s[0:1], 0x40
	s_load_b32 s4, s[0:1], 0x48
	s_load_b256 s[20:27], s[0:1], 0x50
	s_load_b128 s[28:31], s[0:1], 0x30
	s_waitcnt lgkmcnt(0)
	s_barrier
	buffer_gl0_inv
	s_lshl_b64 s[34:35], s[40:41], 2
	s_mul_i32 s2, s45, s4
	s_mul_hi_u32 s3, s44, s4
	s_add_u32 s5, s42, s34
	s_addc_u32 s6, s43, s35
	s_add_i32 s7, s3, s2
	s_cmp_lg_u64 s[24:25], 0
	s_mov_b32 s3, 0
	s_cselect_b32 s48, -1, 0
	s_lshl_b32 s2, s15, 12
	s_delay_alu instid0(SALU_CYCLE_1)
	s_add_u32 s8, s36, s2
	s_addc_u32 s9, s37, 0
	s_add_u32 s36, s8, s40
	s_addc_u32 s37, s9, s41
	s_lshl_b64 s[24:25], s[2:3], 2
	s_mul_i32 s2, s44, s4
	s_add_u32 s31, s5, s24
	s_addc_u32 s33, s6, s25
	s_add_u32 s40, s2, s15
	s_addc_u32 s41, s7, 0
	s_add_u32 s20, s20, -1
	s_addc_u32 s21, s21, -1
	s_delay_alu instid0(SALU_CYCLE_1) | instskip(NEXT) | instid1(VALU_DEP_1)
	v_cmp_ge_u64_e64 s21, s[40:41], s[20:21]
	s_and_b32 vcc_lo, exec_lo, s21
	s_cbranch_vccz .LBB32_103
; %bb.1:
	s_or_b64 s[4:5], s[36:37], s[38:39]
	s_mov_b32 s4, 0
	s_delay_alu instid0(SALU_CYCLE_1)
	s_cmp_lg_u64 s[4:5], 0
	s_cbranch_scc0 .LBB32_104
; %bb.2:
	v_cvt_f32_u32_e32 v1, s38
	v_cvt_f32_u32_e32 v2, s39
	s_sub_u32 s5, 0, s38
	s_subb_u32 s6, 0, s39
	s_delay_alu instid0(VALU_DEP_1) | instskip(NEXT) | instid1(VALU_DEP_1)
	v_fmamk_f32 v1, v2, 0x4f800000, v1
	v_rcp_f32_e32 v1, v1
	s_waitcnt_depctr 0xfff
	v_mul_f32_e32 v1, 0x5f7ffffc, v1
	s_delay_alu instid0(VALU_DEP_1) | instskip(NEXT) | instid1(VALU_DEP_1)
	v_mul_f32_e32 v2, 0x2f800000, v1
	v_trunc_f32_e32 v2, v2
	s_delay_alu instid0(VALU_DEP_1) | instskip(SKIP_1) | instid1(VALU_DEP_2)
	v_fmamk_f32 v1, v2, 0xcf800000, v1
	v_cvt_u32_f32_e32 v2, v2
	v_cvt_u32_f32_e32 v1, v1
	s_delay_alu instid0(VALU_DEP_2) | instskip(NEXT) | instid1(VALU_DEP_2)
	v_readfirstlane_b32 s2, v2
	v_readfirstlane_b32 s3, v1
	s_delay_alu instid0(VALU_DEP_2) | instskip(NEXT) | instid1(VALU_DEP_1)
	s_mul_i32 s7, s5, s2
	s_mul_hi_u32 s9, s5, s3
	s_mul_i32 s8, s6, s3
	s_add_i32 s7, s9, s7
	s_mul_i32 s10, s5, s3
	s_add_i32 s7, s7, s8
	s_mul_hi_u32 s9, s3, s10
	s_mul_hi_u32 s11, s2, s10
	s_mul_i32 s8, s2, s10
	s_mul_hi_u32 s10, s3, s7
	s_mul_i32 s3, s3, s7
	s_mul_hi_u32 s12, s2, s7
	s_add_u32 s3, s9, s3
	s_addc_u32 s9, 0, s10
	s_add_u32 s3, s3, s8
	s_mul_i32 s7, s2, s7
	s_addc_u32 s3, s9, s11
	s_addc_u32 s8, s12, 0
	s_add_u32 s3, s3, s7
	s_addc_u32 s7, 0, s8
	v_add_co_u32 v1, s3, v1, s3
	s_delay_alu instid0(VALU_DEP_1) | instskip(SKIP_1) | instid1(VALU_DEP_1)
	s_cmp_lg_u32 s3, 0
	s_addc_u32 s2, s2, s7
	v_readfirstlane_b32 s3, v1
	s_mul_i32 s7, s5, s2
	s_delay_alu instid0(VALU_DEP_1)
	s_mul_hi_u32 s8, s5, s3
	s_mul_i32 s6, s6, s3
	s_add_i32 s7, s8, s7
	s_mul_i32 s5, s5, s3
	s_add_i32 s7, s7, s6
	s_mul_hi_u32 s8, s2, s5
	s_mul_i32 s9, s2, s5
	s_mul_hi_u32 s5, s3, s5
	s_mul_hi_u32 s10, s3, s7
	s_mul_i32 s3, s3, s7
	s_mul_hi_u32 s6, s2, s7
	s_add_u32 s3, s5, s3
	s_addc_u32 s5, 0, s10
	s_add_u32 s3, s3, s9
	s_mul_i32 s7, s2, s7
	s_addc_u32 s3, s5, s8
	s_addc_u32 s5, s6, 0
	s_add_u32 s3, s3, s7
	s_addc_u32 s5, 0, s5
	v_add_co_u32 v1, s3, v1, s3
	s_delay_alu instid0(VALU_DEP_1) | instskip(SKIP_1) | instid1(VALU_DEP_1)
	s_cmp_lg_u32 s3, 0
	s_addc_u32 s2, s2, s5
	v_readfirstlane_b32 s3, v1
	s_mul_i32 s6, s36, s2
	s_mul_hi_u32 s5, s36, s2
	s_mul_hi_u32 s7, s37, s2
	s_mul_i32 s2, s37, s2
	s_mul_hi_u32 s8, s36, s3
	s_mul_hi_u32 s9, s37, s3
	s_mul_i32 s3, s37, s3
	s_add_u32 s6, s8, s6
	s_addc_u32 s5, 0, s5
	s_add_u32 s3, s6, s3
	s_addc_u32 s3, s5, s9
	s_addc_u32 s5, s7, 0
	s_add_u32 s3, s3, s2
	s_addc_u32 s5, 0, s5
	s_mul_hi_u32 s2, s38, s3
	s_mul_i32 s7, s38, s5
	s_mul_i32 s8, s38, s3
	s_add_i32 s2, s2, s7
	v_sub_co_u32 v1, s7, s36, s8
	s_mul_i32 s6, s39, s3
	s_delay_alu instid0(SALU_CYCLE_1) | instskip(NEXT) | instid1(VALU_DEP_1)
	s_add_i32 s2, s2, s6
	v_sub_co_u32 v2, s8, v1, s38
	s_sub_i32 s6, s37, s2
	s_cmp_lg_u32 s7, 0
	s_subb_u32 s6, s6, s39
	s_cmp_lg_u32 s8, 0
	v_cmp_le_u32_e32 vcc_lo, s38, v2
	s_subb_u32 s6, s6, 0
	s_delay_alu instid0(SALU_CYCLE_1)
	s_cmp_ge_u32 s6, s39
	v_cndmask_b32_e64 v2, 0, -1, vcc_lo
	s_cselect_b32 s8, -1, 0
	s_cmp_eq_u32 s6, s39
	s_cselect_b32 vcc_lo, -1, 0
	s_add_u32 s6, s3, 1
	v_cndmask_b32_e32 v2, s8, v2, vcc_lo
	s_addc_u32 s8, s5, 0
	s_add_u32 s9, s3, 2
	s_addc_u32 s10, s5, 0
	v_mov_b32_e32 v3, s9
	s_cmp_lg_u32 s7, 0
	v_cmp_le_u32_e32 vcc_lo, s38, v1
	s_subb_u32 s2, s37, s2
	s_delay_alu instid0(SALU_CYCLE_1)
	s_cmp_ge_u32 s2, s39
	v_cndmask_b32_e64 v1, 0, -1, vcc_lo
	s_cselect_b32 s7, -1, 0
	s_cmp_eq_u32 s2, s39
	v_cmp_ne_u32_e32 vcc_lo, 0, v2
	s_cselect_b32 s2, -1, 0
	v_mov_b32_e32 v2, s10
	v_cndmask_b32_e64 v1, s7, v1, s2
	v_cndmask_b32_e32 v3, s6, v3, vcc_lo
	s_delay_alu instid0(VALU_DEP_3) | instskip(NEXT) | instid1(VALU_DEP_3)
	v_cndmask_b32_e32 v2, s8, v2, vcc_lo
	v_cmp_ne_u32_e32 vcc_lo, 0, v1
	s_delay_alu instid0(VALU_DEP_2) | instskip(NEXT) | instid1(VALU_DEP_4)
	v_cndmask_b32_e32 v34, s5, v2, vcc_lo
	v_cndmask_b32_e32 v33, s3, v3, vcc_lo
	s_and_not1_b32 vcc_lo, exec_lo, s4
	s_cbranch_vccnz .LBB32_4
.LBB32_3:
	v_cvt_f32_u32_e32 v1, s38
	s_sub_i32 s3, 0, s38
	s_delay_alu instid0(VALU_DEP_1) | instskip(SKIP_2) | instid1(VALU_DEP_1)
	v_rcp_iflag_f32_e32 v1, v1
	s_waitcnt_depctr 0xfff
	v_mul_f32_e32 v1, 0x4f7ffffe, v1
	v_cvt_u32_f32_e32 v1, v1
	s_delay_alu instid0(VALU_DEP_1) | instskip(NEXT) | instid1(VALU_DEP_1)
	v_readfirstlane_b32 s2, v1
	s_mul_i32 s3, s3, s2
	s_delay_alu instid0(SALU_CYCLE_1) | instskip(NEXT) | instid1(SALU_CYCLE_1)
	s_mul_hi_u32 s3, s2, s3
	s_add_i32 s2, s2, s3
	s_delay_alu instid0(SALU_CYCLE_1) | instskip(NEXT) | instid1(SALU_CYCLE_1)
	s_mul_hi_u32 s2, s36, s2
	s_mul_i32 s3, s2, s38
	s_add_i32 s4, s2, 1
	s_sub_i32 s3, s36, s3
	s_delay_alu instid0(SALU_CYCLE_1)
	s_sub_i32 s5, s3, s38
	s_cmp_ge_u32 s3, s38
	s_cselect_b32 s2, s4, s2
	s_cselect_b32 s3, s5, s3
	s_add_i32 s4, s2, 1
	s_cmp_ge_u32 s3, s38
	s_mov_b32 s3, 0
	s_cselect_b32 s2, s4, s2
	s_delay_alu instid0(SALU_CYCLE_1)
	v_dual_mov_b32 v34, s3 :: v_dual_mov_b32 v33, s2
.LBB32_4:
	s_lshl_b32 s2, s20, 12
	s_delay_alu instid0(VALU_DEP_1) | instskip(SKIP_1) | instid1(SALU_CYCLE_1)
	v_dual_mov_b32 v1, v33 :: v_dual_mov_b32 v2, v34
	s_sub_i32 s49, s30, s2
	v_cmp_gt_u32_e64 s2, s49, v0
	s_delay_alu instid0(VALU_DEP_1)
	s_and_saveexec_b32 s4, s2
	s_cbranch_execz .LBB32_10
; %bb.5:
	v_add_co_u32 v3, s3, s36, v0
	s_delay_alu instid0(VALU_DEP_1) | instskip(SKIP_1) | instid1(VALU_DEP_2)
	v_add_co_ci_u32_e64 v4, null, s37, 0, s3
	v_mov_b32_e32 v1, 0
	v_or_b32_e32 v2, s39, v4
	s_delay_alu instid0(VALU_DEP_1) | instskip(SKIP_1) | instid1(SALU_CYCLE_1)
	v_cmp_ne_u64_e32 vcc_lo, 0, v[1:2]
                                        ; implicit-def: $vgpr1_vgpr2
	s_and_saveexec_b32 s3, vcc_lo
	s_xor_b32 s5, exec_lo, s3
	s_cbranch_execz .LBB32_7
; %bb.6:
	v_cvt_f32_u32_e32 v1, s38
	v_cvt_f32_u32_e32 v2, s39
	s_sub_u32 s3, 0, s38
	s_subb_u32 s6, 0, s39
	s_delay_alu instid0(VALU_DEP_1) | instskip(NEXT) | instid1(VALU_DEP_1)
	v_fmamk_f32 v1, v2, 0x4f800000, v1
	v_rcp_f32_e32 v1, v1
	s_waitcnt_depctr 0xfff
	v_mul_f32_e32 v1, 0x5f7ffffc, v1
	s_delay_alu instid0(VALU_DEP_1) | instskip(NEXT) | instid1(VALU_DEP_1)
	v_mul_f32_e32 v2, 0x2f800000, v1
	v_trunc_f32_e32 v2, v2
	s_delay_alu instid0(VALU_DEP_1) | instskip(SKIP_1) | instid1(VALU_DEP_2)
	v_fmamk_f32 v1, v2, 0xcf800000, v1
	v_cvt_u32_f32_e32 v2, v2
	v_cvt_u32_f32_e32 v1, v1
	s_delay_alu instid0(VALU_DEP_2) | instskip(NEXT) | instid1(VALU_DEP_2)
	v_mul_lo_u32 v5, s3, v2
	v_mul_hi_u32 v6, s3, v1
	v_mul_lo_u32 v7, s6, v1
	s_delay_alu instid0(VALU_DEP_2) | instskip(SKIP_1) | instid1(VALU_DEP_2)
	v_add_nc_u32_e32 v5, v6, v5
	v_mul_lo_u32 v6, s3, v1
	v_add_nc_u32_e32 v5, v5, v7
	s_delay_alu instid0(VALU_DEP_2) | instskip(NEXT) | instid1(VALU_DEP_2)
	v_mul_hi_u32 v7, v1, v6
	v_mul_lo_u32 v8, v1, v5
	v_mul_hi_u32 v9, v1, v5
	v_mul_hi_u32 v10, v2, v6
	v_mul_lo_u32 v6, v2, v6
	v_mul_hi_u32 v11, v2, v5
	v_mul_lo_u32 v5, v2, v5
	v_add_co_u32 v7, vcc_lo, v7, v8
	v_add_co_ci_u32_e32 v8, vcc_lo, 0, v9, vcc_lo
	s_delay_alu instid0(VALU_DEP_2) | instskip(NEXT) | instid1(VALU_DEP_2)
	v_add_co_u32 v6, vcc_lo, v7, v6
	v_add_co_ci_u32_e32 v6, vcc_lo, v8, v10, vcc_lo
	v_add_co_ci_u32_e32 v7, vcc_lo, 0, v11, vcc_lo
	s_delay_alu instid0(VALU_DEP_2) | instskip(NEXT) | instid1(VALU_DEP_2)
	v_add_co_u32 v5, vcc_lo, v6, v5
	v_add_co_ci_u32_e32 v6, vcc_lo, 0, v7, vcc_lo
	s_delay_alu instid0(VALU_DEP_2) | instskip(NEXT) | instid1(VALU_DEP_2)
	v_add_co_u32 v1, vcc_lo, v1, v5
	v_add_co_ci_u32_e32 v2, vcc_lo, v2, v6, vcc_lo
	s_delay_alu instid0(VALU_DEP_2) | instskip(SKIP_1) | instid1(VALU_DEP_3)
	v_mul_hi_u32 v5, s3, v1
	v_mul_lo_u32 v7, s6, v1
	v_mul_lo_u32 v6, s3, v2
	s_delay_alu instid0(VALU_DEP_1) | instskip(SKIP_1) | instid1(VALU_DEP_2)
	v_add_nc_u32_e32 v5, v5, v6
	v_mul_lo_u32 v6, s3, v1
	v_add_nc_u32_e32 v5, v5, v7
	s_delay_alu instid0(VALU_DEP_2) | instskip(NEXT) | instid1(VALU_DEP_2)
	v_mul_hi_u32 v7, v1, v6
	v_mul_lo_u32 v8, v1, v5
	v_mul_hi_u32 v9, v1, v5
	v_mul_hi_u32 v10, v2, v6
	v_mul_lo_u32 v6, v2, v6
	v_mul_hi_u32 v11, v2, v5
	v_mul_lo_u32 v5, v2, v5
	v_add_co_u32 v7, vcc_lo, v7, v8
	v_add_co_ci_u32_e32 v8, vcc_lo, 0, v9, vcc_lo
	s_delay_alu instid0(VALU_DEP_2) | instskip(NEXT) | instid1(VALU_DEP_2)
	v_add_co_u32 v6, vcc_lo, v7, v6
	v_add_co_ci_u32_e32 v6, vcc_lo, v8, v10, vcc_lo
	v_add_co_ci_u32_e32 v7, vcc_lo, 0, v11, vcc_lo
	s_delay_alu instid0(VALU_DEP_2) | instskip(NEXT) | instid1(VALU_DEP_2)
	v_add_co_u32 v5, vcc_lo, v6, v5
	v_add_co_ci_u32_e32 v6, vcc_lo, 0, v7, vcc_lo
	s_delay_alu instid0(VALU_DEP_2) | instskip(NEXT) | instid1(VALU_DEP_2)
	v_add_co_u32 v7, vcc_lo, v1, v5
	v_add_co_ci_u32_e32 v9, vcc_lo, v2, v6, vcc_lo
	s_delay_alu instid0(VALU_DEP_2) | instskip(SKIP_1) | instid1(VALU_DEP_3)
	v_mul_hi_u32 v10, v3, v7
	v_mad_u64_u32 v[5:6], null, v4, v7, 0
	v_mad_u64_u32 v[1:2], null, v3, v9, 0
	v_mad_u64_u32 v[7:8], null, v4, v9, 0
	s_delay_alu instid0(VALU_DEP_2) | instskip(NEXT) | instid1(VALU_DEP_3)
	v_add_co_u32 v1, vcc_lo, v10, v1
	v_add_co_ci_u32_e32 v2, vcc_lo, 0, v2, vcc_lo
	s_delay_alu instid0(VALU_DEP_2) | instskip(NEXT) | instid1(VALU_DEP_2)
	v_add_co_u32 v1, vcc_lo, v1, v5
	v_add_co_ci_u32_e32 v1, vcc_lo, v2, v6, vcc_lo
	v_add_co_ci_u32_e32 v2, vcc_lo, 0, v8, vcc_lo
	s_delay_alu instid0(VALU_DEP_2) | instskip(NEXT) | instid1(VALU_DEP_2)
	v_add_co_u32 v5, vcc_lo, v1, v7
	v_add_co_ci_u32_e32 v6, vcc_lo, 0, v2, vcc_lo
	s_delay_alu instid0(VALU_DEP_2) | instskip(SKIP_1) | instid1(VALU_DEP_3)
	v_mul_lo_u32 v7, s39, v5
	v_mad_u64_u32 v[1:2], null, s38, v5, 0
	v_mul_lo_u32 v8, s38, v6
	s_delay_alu instid0(VALU_DEP_2) | instskip(NEXT) | instid1(VALU_DEP_2)
	v_sub_co_u32 v1, vcc_lo, v3, v1
	v_add3_u32 v2, v2, v8, v7
	s_delay_alu instid0(VALU_DEP_1) | instskip(NEXT) | instid1(VALU_DEP_1)
	v_sub_nc_u32_e32 v7, v4, v2
	v_subrev_co_ci_u32_e64 v3, s3, s39, v7, vcc_lo
	v_add_co_u32 v7, s3, v5, 2
	s_delay_alu instid0(VALU_DEP_1) | instskip(SKIP_3) | instid1(VALU_DEP_3)
	v_add_co_ci_u32_e64 v8, s3, 0, v6, s3
	v_sub_co_u32 v9, s3, v1, s38
	v_sub_co_ci_u32_e32 v2, vcc_lo, v4, v2, vcc_lo
	v_subrev_co_ci_u32_e64 v3, s3, 0, v3, s3
	v_cmp_le_u32_e32 vcc_lo, s38, v9
	s_delay_alu instid0(VALU_DEP_3) | instskip(SKIP_1) | instid1(VALU_DEP_4)
	v_cmp_eq_u32_e64 s3, s39, v2
	v_cndmask_b32_e64 v4, 0, -1, vcc_lo
	v_cmp_le_u32_e32 vcc_lo, s39, v3
	v_cndmask_b32_e64 v9, 0, -1, vcc_lo
	v_cmp_le_u32_e32 vcc_lo, s38, v1
	;; [unrolled: 2-line block ×3, first 2 shown]
	v_cndmask_b32_e64 v10, 0, -1, vcc_lo
	v_cmp_eq_u32_e32 vcc_lo, s39, v3
	s_delay_alu instid0(VALU_DEP_2) | instskip(SKIP_3) | instid1(VALU_DEP_3)
	v_cndmask_b32_e64 v1, v10, v1, s3
	v_cndmask_b32_e32 v3, v9, v4, vcc_lo
	v_add_co_u32 v4, vcc_lo, v5, 1
	v_add_co_ci_u32_e32 v9, vcc_lo, 0, v6, vcc_lo
	v_cmp_ne_u32_e32 vcc_lo, 0, v3
	s_delay_alu instid0(VALU_DEP_2) | instskip(SKIP_1) | instid1(VALU_DEP_2)
	v_dual_cndmask_b32 v2, v9, v8 :: v_dual_cndmask_b32 v3, v4, v7
	v_cmp_ne_u32_e32 vcc_lo, 0, v1
	v_dual_cndmask_b32 v2, v6, v2 :: v_dual_cndmask_b32 v1, v5, v3
                                        ; implicit-def: $vgpr3
.LBB32_7:
	s_and_not1_saveexec_b32 s3, s5
	s_cbranch_execz .LBB32_9
; %bb.8:
	v_cvt_f32_u32_e32 v1, s38
	s_sub_i32 s5, 0, s38
	s_delay_alu instid0(VALU_DEP_1) | instskip(SKIP_2) | instid1(VALU_DEP_1)
	v_rcp_iflag_f32_e32 v1, v1
	s_waitcnt_depctr 0xfff
	v_mul_f32_e32 v1, 0x4f7ffffe, v1
	v_cvt_u32_f32_e32 v1, v1
	s_delay_alu instid0(VALU_DEP_1) | instskip(NEXT) | instid1(VALU_DEP_1)
	v_mul_lo_u32 v2, s5, v1
	v_mul_hi_u32 v2, v1, v2
	s_delay_alu instid0(VALU_DEP_1) | instskip(NEXT) | instid1(VALU_DEP_1)
	v_add_nc_u32_e32 v1, v1, v2
	v_mul_hi_u32 v1, v3, v1
	s_delay_alu instid0(VALU_DEP_1) | instskip(NEXT) | instid1(VALU_DEP_1)
	v_mul_lo_u32 v2, v1, s38
	v_sub_nc_u32_e32 v2, v3, v2
	v_add_nc_u32_e32 v3, 1, v1
	s_delay_alu instid0(VALU_DEP_2) | instskip(SKIP_1) | instid1(VALU_DEP_2)
	v_subrev_nc_u32_e32 v4, s38, v2
	v_cmp_le_u32_e32 vcc_lo, s38, v2
	v_dual_cndmask_b32 v2, v2, v4 :: v_dual_cndmask_b32 v1, v1, v3
	s_delay_alu instid0(VALU_DEP_1) | instskip(NEXT) | instid1(VALU_DEP_2)
	v_cmp_le_u32_e32 vcc_lo, s38, v2
	v_dual_mov_b32 v2, 0 :: v_dual_add_nc_u32 v3, 1, v1
	s_delay_alu instid0(VALU_DEP_1)
	v_cndmask_b32_e32 v1, v1, v3, vcc_lo
.LBB32_9:
	s_or_b32 exec_lo, exec_lo, s3
.LBB32_10:
	s_delay_alu instid0(SALU_CYCLE_1) | instskip(SKIP_2) | instid1(VALU_DEP_2)
	s_or_b32 exec_lo, exec_lo, s4
	v_or_b32_e32 v35, 0x100, v0
	v_dual_mov_b32 v3, v33 :: v_dual_mov_b32 v4, v34
	v_cmp_gt_u32_e64 s3, s49, v35
	s_delay_alu instid0(VALU_DEP_1)
	s_and_saveexec_b32 s5, s3
	s_cbranch_execz .LBB32_16
; %bb.11:
	v_add_co_u32 v5, s4, s36, v35
	s_delay_alu instid0(VALU_DEP_1) | instskip(SKIP_1) | instid1(VALU_DEP_2)
	v_add_co_ci_u32_e64 v6, null, s37, 0, s4
	v_mov_b32_e32 v3, 0
	v_or_b32_e32 v4, s39, v6
	s_delay_alu instid0(VALU_DEP_1) | instskip(SKIP_1) | instid1(SALU_CYCLE_1)
	v_cmp_ne_u64_e32 vcc_lo, 0, v[3:4]
                                        ; implicit-def: $vgpr3_vgpr4
	s_and_saveexec_b32 s4, vcc_lo
	s_xor_b32 s6, exec_lo, s4
	s_cbranch_execz .LBB32_13
; %bb.12:
	v_cvt_f32_u32_e32 v3, s38
	v_cvt_f32_u32_e32 v4, s39
	s_sub_u32 s4, 0, s38
	s_subb_u32 s7, 0, s39
	s_delay_alu instid0(VALU_DEP_1) | instskip(NEXT) | instid1(VALU_DEP_1)
	v_fmamk_f32 v3, v4, 0x4f800000, v3
	v_rcp_f32_e32 v3, v3
	s_waitcnt_depctr 0xfff
	v_mul_f32_e32 v3, 0x5f7ffffc, v3
	s_delay_alu instid0(VALU_DEP_1) | instskip(NEXT) | instid1(VALU_DEP_1)
	v_mul_f32_e32 v4, 0x2f800000, v3
	v_trunc_f32_e32 v4, v4
	s_delay_alu instid0(VALU_DEP_1) | instskip(SKIP_1) | instid1(VALU_DEP_2)
	v_fmamk_f32 v3, v4, 0xcf800000, v3
	v_cvt_u32_f32_e32 v4, v4
	v_cvt_u32_f32_e32 v3, v3
	s_delay_alu instid0(VALU_DEP_2) | instskip(NEXT) | instid1(VALU_DEP_2)
	v_mul_lo_u32 v7, s4, v4
	v_mul_hi_u32 v8, s4, v3
	v_mul_lo_u32 v9, s7, v3
	s_delay_alu instid0(VALU_DEP_2) | instskip(SKIP_1) | instid1(VALU_DEP_2)
	v_add_nc_u32_e32 v7, v8, v7
	v_mul_lo_u32 v8, s4, v3
	v_add_nc_u32_e32 v7, v7, v9
	s_delay_alu instid0(VALU_DEP_2) | instskip(NEXT) | instid1(VALU_DEP_2)
	v_mul_hi_u32 v9, v3, v8
	v_mul_lo_u32 v10, v3, v7
	v_mul_hi_u32 v11, v3, v7
	v_mul_hi_u32 v12, v4, v8
	v_mul_lo_u32 v8, v4, v8
	v_mul_hi_u32 v13, v4, v7
	v_mul_lo_u32 v7, v4, v7
	v_add_co_u32 v9, vcc_lo, v9, v10
	v_add_co_ci_u32_e32 v10, vcc_lo, 0, v11, vcc_lo
	s_delay_alu instid0(VALU_DEP_2) | instskip(NEXT) | instid1(VALU_DEP_2)
	v_add_co_u32 v8, vcc_lo, v9, v8
	v_add_co_ci_u32_e32 v8, vcc_lo, v10, v12, vcc_lo
	v_add_co_ci_u32_e32 v9, vcc_lo, 0, v13, vcc_lo
	s_delay_alu instid0(VALU_DEP_2) | instskip(NEXT) | instid1(VALU_DEP_2)
	v_add_co_u32 v7, vcc_lo, v8, v7
	v_add_co_ci_u32_e32 v8, vcc_lo, 0, v9, vcc_lo
	s_delay_alu instid0(VALU_DEP_2) | instskip(NEXT) | instid1(VALU_DEP_2)
	v_add_co_u32 v3, vcc_lo, v3, v7
	v_add_co_ci_u32_e32 v4, vcc_lo, v4, v8, vcc_lo
	s_delay_alu instid0(VALU_DEP_2) | instskip(SKIP_1) | instid1(VALU_DEP_3)
	v_mul_hi_u32 v7, s4, v3
	v_mul_lo_u32 v9, s7, v3
	v_mul_lo_u32 v8, s4, v4
	s_delay_alu instid0(VALU_DEP_1) | instskip(SKIP_1) | instid1(VALU_DEP_2)
	v_add_nc_u32_e32 v7, v7, v8
	v_mul_lo_u32 v8, s4, v3
	v_add_nc_u32_e32 v7, v7, v9
	s_delay_alu instid0(VALU_DEP_2) | instskip(NEXT) | instid1(VALU_DEP_2)
	v_mul_hi_u32 v9, v3, v8
	v_mul_lo_u32 v10, v3, v7
	v_mul_hi_u32 v11, v3, v7
	v_mul_hi_u32 v12, v4, v8
	v_mul_lo_u32 v8, v4, v8
	v_mul_hi_u32 v13, v4, v7
	v_mul_lo_u32 v7, v4, v7
	v_add_co_u32 v9, vcc_lo, v9, v10
	v_add_co_ci_u32_e32 v10, vcc_lo, 0, v11, vcc_lo
	s_delay_alu instid0(VALU_DEP_2) | instskip(NEXT) | instid1(VALU_DEP_2)
	v_add_co_u32 v8, vcc_lo, v9, v8
	v_add_co_ci_u32_e32 v8, vcc_lo, v10, v12, vcc_lo
	v_add_co_ci_u32_e32 v9, vcc_lo, 0, v13, vcc_lo
	s_delay_alu instid0(VALU_DEP_2) | instskip(NEXT) | instid1(VALU_DEP_2)
	v_add_co_u32 v7, vcc_lo, v8, v7
	v_add_co_ci_u32_e32 v8, vcc_lo, 0, v9, vcc_lo
	s_delay_alu instid0(VALU_DEP_2) | instskip(NEXT) | instid1(VALU_DEP_2)
	v_add_co_u32 v9, vcc_lo, v3, v7
	v_add_co_ci_u32_e32 v11, vcc_lo, v4, v8, vcc_lo
	s_delay_alu instid0(VALU_DEP_2) | instskip(SKIP_1) | instid1(VALU_DEP_3)
	v_mul_hi_u32 v12, v5, v9
	v_mad_u64_u32 v[7:8], null, v6, v9, 0
	v_mad_u64_u32 v[3:4], null, v5, v11, 0
	;; [unrolled: 1-line block ×3, first 2 shown]
	s_delay_alu instid0(VALU_DEP_2) | instskip(NEXT) | instid1(VALU_DEP_3)
	v_add_co_u32 v3, vcc_lo, v12, v3
	v_add_co_ci_u32_e32 v4, vcc_lo, 0, v4, vcc_lo
	s_delay_alu instid0(VALU_DEP_2) | instskip(NEXT) | instid1(VALU_DEP_2)
	v_add_co_u32 v3, vcc_lo, v3, v7
	v_add_co_ci_u32_e32 v3, vcc_lo, v4, v8, vcc_lo
	v_add_co_ci_u32_e32 v4, vcc_lo, 0, v10, vcc_lo
	s_delay_alu instid0(VALU_DEP_2) | instskip(NEXT) | instid1(VALU_DEP_2)
	v_add_co_u32 v7, vcc_lo, v3, v9
	v_add_co_ci_u32_e32 v8, vcc_lo, 0, v4, vcc_lo
	s_delay_alu instid0(VALU_DEP_2) | instskip(SKIP_1) | instid1(VALU_DEP_3)
	v_mul_lo_u32 v9, s39, v7
	v_mad_u64_u32 v[3:4], null, s38, v7, 0
	v_mul_lo_u32 v10, s38, v8
	s_delay_alu instid0(VALU_DEP_2) | instskip(NEXT) | instid1(VALU_DEP_2)
	v_sub_co_u32 v3, vcc_lo, v5, v3
	v_add3_u32 v4, v4, v10, v9
	s_delay_alu instid0(VALU_DEP_1) | instskip(NEXT) | instid1(VALU_DEP_1)
	v_sub_nc_u32_e32 v9, v6, v4
	v_subrev_co_ci_u32_e64 v5, s4, s39, v9, vcc_lo
	v_add_co_u32 v9, s4, v7, 2
	s_delay_alu instid0(VALU_DEP_1) | instskip(SKIP_3) | instid1(VALU_DEP_3)
	v_add_co_ci_u32_e64 v10, s4, 0, v8, s4
	v_sub_co_u32 v11, s4, v3, s38
	v_sub_co_ci_u32_e32 v4, vcc_lo, v6, v4, vcc_lo
	v_subrev_co_ci_u32_e64 v5, s4, 0, v5, s4
	v_cmp_le_u32_e32 vcc_lo, s38, v11
	s_delay_alu instid0(VALU_DEP_3) | instskip(SKIP_1) | instid1(VALU_DEP_4)
	v_cmp_eq_u32_e64 s4, s39, v4
	v_cndmask_b32_e64 v6, 0, -1, vcc_lo
	v_cmp_le_u32_e32 vcc_lo, s39, v5
	v_cndmask_b32_e64 v11, 0, -1, vcc_lo
	v_cmp_le_u32_e32 vcc_lo, s38, v3
	;; [unrolled: 2-line block ×3, first 2 shown]
	v_cndmask_b32_e64 v12, 0, -1, vcc_lo
	v_cmp_eq_u32_e32 vcc_lo, s39, v5
	s_delay_alu instid0(VALU_DEP_2) | instskip(SKIP_3) | instid1(VALU_DEP_3)
	v_cndmask_b32_e64 v3, v12, v3, s4
	v_cndmask_b32_e32 v5, v11, v6, vcc_lo
	v_add_co_u32 v6, vcc_lo, v7, 1
	v_add_co_ci_u32_e32 v11, vcc_lo, 0, v8, vcc_lo
	v_cmp_ne_u32_e32 vcc_lo, 0, v5
	s_delay_alu instid0(VALU_DEP_2) | instskip(SKIP_1) | instid1(VALU_DEP_2)
	v_dual_cndmask_b32 v4, v11, v10 :: v_dual_cndmask_b32 v5, v6, v9
	v_cmp_ne_u32_e32 vcc_lo, 0, v3
	v_dual_cndmask_b32 v4, v8, v4 :: v_dual_cndmask_b32 v3, v7, v5
                                        ; implicit-def: $vgpr5
.LBB32_13:
	s_and_not1_saveexec_b32 s4, s6
	s_cbranch_execz .LBB32_15
; %bb.14:
	v_cvt_f32_u32_e32 v3, s38
	s_sub_i32 s6, 0, s38
	s_delay_alu instid0(VALU_DEP_1) | instskip(SKIP_2) | instid1(VALU_DEP_1)
	v_rcp_iflag_f32_e32 v3, v3
	s_waitcnt_depctr 0xfff
	v_mul_f32_e32 v3, 0x4f7ffffe, v3
	v_cvt_u32_f32_e32 v3, v3
	s_delay_alu instid0(VALU_DEP_1) | instskip(NEXT) | instid1(VALU_DEP_1)
	v_mul_lo_u32 v4, s6, v3
	v_mul_hi_u32 v4, v3, v4
	s_delay_alu instid0(VALU_DEP_1) | instskip(NEXT) | instid1(VALU_DEP_1)
	v_add_nc_u32_e32 v3, v3, v4
	v_mul_hi_u32 v3, v5, v3
	s_delay_alu instid0(VALU_DEP_1) | instskip(NEXT) | instid1(VALU_DEP_1)
	v_mul_lo_u32 v4, v3, s38
	v_sub_nc_u32_e32 v4, v5, v4
	v_add_nc_u32_e32 v5, 1, v3
	s_delay_alu instid0(VALU_DEP_2) | instskip(SKIP_1) | instid1(VALU_DEP_2)
	v_subrev_nc_u32_e32 v6, s38, v4
	v_cmp_le_u32_e32 vcc_lo, s38, v4
	v_dual_cndmask_b32 v4, v4, v6 :: v_dual_cndmask_b32 v3, v3, v5
	s_delay_alu instid0(VALU_DEP_1) | instskip(NEXT) | instid1(VALU_DEP_2)
	v_cmp_le_u32_e32 vcc_lo, s38, v4
	v_dual_mov_b32 v4, 0 :: v_dual_add_nc_u32 v5, 1, v3
	s_delay_alu instid0(VALU_DEP_1)
	v_cndmask_b32_e32 v3, v3, v5, vcc_lo
.LBB32_15:
	s_or_b32 exec_lo, exec_lo, s4
.LBB32_16:
	s_delay_alu instid0(SALU_CYCLE_1) | instskip(SKIP_2) | instid1(VALU_DEP_2)
	s_or_b32 exec_lo, exec_lo, s5
	v_or_b32_e32 v37, 0x200, v0
	v_dual_mov_b32 v5, v33 :: v_dual_mov_b32 v6, v34
	v_cmp_gt_u32_e64 s4, s49, v37
	s_delay_alu instid0(VALU_DEP_1)
	s_and_saveexec_b32 s6, s4
	s_cbranch_execz .LBB32_22
; %bb.17:
	v_add_co_u32 v7, s5, s36, v37
	s_delay_alu instid0(VALU_DEP_1) | instskip(SKIP_1) | instid1(VALU_DEP_2)
	v_add_co_ci_u32_e64 v8, null, s37, 0, s5
	v_mov_b32_e32 v5, 0
	v_or_b32_e32 v6, s39, v8
	s_delay_alu instid0(VALU_DEP_1) | instskip(SKIP_1) | instid1(SALU_CYCLE_1)
	v_cmp_ne_u64_e32 vcc_lo, 0, v[5:6]
                                        ; implicit-def: $vgpr5_vgpr6
	s_and_saveexec_b32 s5, vcc_lo
	s_xor_b32 s7, exec_lo, s5
	s_cbranch_execz .LBB32_19
; %bb.18:
	v_cvt_f32_u32_e32 v5, s38
	v_cvt_f32_u32_e32 v6, s39
	s_sub_u32 s5, 0, s38
	s_subb_u32 s8, 0, s39
	s_delay_alu instid0(VALU_DEP_1) | instskip(NEXT) | instid1(VALU_DEP_1)
	v_fmamk_f32 v5, v6, 0x4f800000, v5
	v_rcp_f32_e32 v5, v5
	s_waitcnt_depctr 0xfff
	v_mul_f32_e32 v5, 0x5f7ffffc, v5
	s_delay_alu instid0(VALU_DEP_1) | instskip(NEXT) | instid1(VALU_DEP_1)
	v_mul_f32_e32 v6, 0x2f800000, v5
	v_trunc_f32_e32 v6, v6
	s_delay_alu instid0(VALU_DEP_1) | instskip(SKIP_1) | instid1(VALU_DEP_2)
	v_fmamk_f32 v5, v6, 0xcf800000, v5
	v_cvt_u32_f32_e32 v6, v6
	v_cvt_u32_f32_e32 v5, v5
	s_delay_alu instid0(VALU_DEP_2) | instskip(NEXT) | instid1(VALU_DEP_2)
	v_mul_lo_u32 v9, s5, v6
	v_mul_hi_u32 v10, s5, v5
	v_mul_lo_u32 v11, s8, v5
	s_delay_alu instid0(VALU_DEP_2) | instskip(SKIP_1) | instid1(VALU_DEP_2)
	v_add_nc_u32_e32 v9, v10, v9
	v_mul_lo_u32 v10, s5, v5
	v_add_nc_u32_e32 v9, v9, v11
	s_delay_alu instid0(VALU_DEP_2) | instskip(NEXT) | instid1(VALU_DEP_2)
	v_mul_hi_u32 v11, v5, v10
	v_mul_lo_u32 v12, v5, v9
	v_mul_hi_u32 v13, v5, v9
	v_mul_hi_u32 v14, v6, v10
	v_mul_lo_u32 v10, v6, v10
	v_mul_hi_u32 v15, v6, v9
	v_mul_lo_u32 v9, v6, v9
	v_add_co_u32 v11, vcc_lo, v11, v12
	v_add_co_ci_u32_e32 v12, vcc_lo, 0, v13, vcc_lo
	s_delay_alu instid0(VALU_DEP_2) | instskip(NEXT) | instid1(VALU_DEP_2)
	v_add_co_u32 v10, vcc_lo, v11, v10
	v_add_co_ci_u32_e32 v10, vcc_lo, v12, v14, vcc_lo
	v_add_co_ci_u32_e32 v11, vcc_lo, 0, v15, vcc_lo
	s_delay_alu instid0(VALU_DEP_2) | instskip(NEXT) | instid1(VALU_DEP_2)
	v_add_co_u32 v9, vcc_lo, v10, v9
	v_add_co_ci_u32_e32 v10, vcc_lo, 0, v11, vcc_lo
	s_delay_alu instid0(VALU_DEP_2) | instskip(NEXT) | instid1(VALU_DEP_2)
	v_add_co_u32 v5, vcc_lo, v5, v9
	v_add_co_ci_u32_e32 v6, vcc_lo, v6, v10, vcc_lo
	s_delay_alu instid0(VALU_DEP_2) | instskip(SKIP_1) | instid1(VALU_DEP_3)
	v_mul_hi_u32 v9, s5, v5
	v_mul_lo_u32 v11, s8, v5
	v_mul_lo_u32 v10, s5, v6
	s_delay_alu instid0(VALU_DEP_1) | instskip(SKIP_1) | instid1(VALU_DEP_2)
	v_add_nc_u32_e32 v9, v9, v10
	v_mul_lo_u32 v10, s5, v5
	v_add_nc_u32_e32 v9, v9, v11
	s_delay_alu instid0(VALU_DEP_2) | instskip(NEXT) | instid1(VALU_DEP_2)
	v_mul_hi_u32 v11, v5, v10
	v_mul_lo_u32 v12, v5, v9
	v_mul_hi_u32 v13, v5, v9
	v_mul_hi_u32 v14, v6, v10
	v_mul_lo_u32 v10, v6, v10
	v_mul_hi_u32 v15, v6, v9
	v_mul_lo_u32 v9, v6, v9
	v_add_co_u32 v11, vcc_lo, v11, v12
	v_add_co_ci_u32_e32 v12, vcc_lo, 0, v13, vcc_lo
	s_delay_alu instid0(VALU_DEP_2) | instskip(NEXT) | instid1(VALU_DEP_2)
	v_add_co_u32 v10, vcc_lo, v11, v10
	v_add_co_ci_u32_e32 v10, vcc_lo, v12, v14, vcc_lo
	v_add_co_ci_u32_e32 v11, vcc_lo, 0, v15, vcc_lo
	s_delay_alu instid0(VALU_DEP_2) | instskip(NEXT) | instid1(VALU_DEP_2)
	v_add_co_u32 v9, vcc_lo, v10, v9
	v_add_co_ci_u32_e32 v10, vcc_lo, 0, v11, vcc_lo
	s_delay_alu instid0(VALU_DEP_2) | instskip(NEXT) | instid1(VALU_DEP_2)
	v_add_co_u32 v11, vcc_lo, v5, v9
	v_add_co_ci_u32_e32 v13, vcc_lo, v6, v10, vcc_lo
	s_delay_alu instid0(VALU_DEP_2) | instskip(SKIP_1) | instid1(VALU_DEP_3)
	v_mul_hi_u32 v14, v7, v11
	v_mad_u64_u32 v[9:10], null, v8, v11, 0
	v_mad_u64_u32 v[5:6], null, v7, v13, 0
	;; [unrolled: 1-line block ×3, first 2 shown]
	s_delay_alu instid0(VALU_DEP_2) | instskip(NEXT) | instid1(VALU_DEP_3)
	v_add_co_u32 v5, vcc_lo, v14, v5
	v_add_co_ci_u32_e32 v6, vcc_lo, 0, v6, vcc_lo
	s_delay_alu instid0(VALU_DEP_2) | instskip(NEXT) | instid1(VALU_DEP_2)
	v_add_co_u32 v5, vcc_lo, v5, v9
	v_add_co_ci_u32_e32 v5, vcc_lo, v6, v10, vcc_lo
	v_add_co_ci_u32_e32 v6, vcc_lo, 0, v12, vcc_lo
	s_delay_alu instid0(VALU_DEP_2) | instskip(NEXT) | instid1(VALU_DEP_2)
	v_add_co_u32 v9, vcc_lo, v5, v11
	v_add_co_ci_u32_e32 v10, vcc_lo, 0, v6, vcc_lo
	s_delay_alu instid0(VALU_DEP_2) | instskip(SKIP_1) | instid1(VALU_DEP_3)
	v_mul_lo_u32 v11, s39, v9
	v_mad_u64_u32 v[5:6], null, s38, v9, 0
	v_mul_lo_u32 v12, s38, v10
	s_delay_alu instid0(VALU_DEP_2) | instskip(NEXT) | instid1(VALU_DEP_2)
	v_sub_co_u32 v5, vcc_lo, v7, v5
	v_add3_u32 v6, v6, v12, v11
	s_delay_alu instid0(VALU_DEP_1) | instskip(NEXT) | instid1(VALU_DEP_1)
	v_sub_nc_u32_e32 v11, v8, v6
	v_subrev_co_ci_u32_e64 v7, s5, s39, v11, vcc_lo
	v_add_co_u32 v11, s5, v9, 2
	s_delay_alu instid0(VALU_DEP_1) | instskip(SKIP_3) | instid1(VALU_DEP_3)
	v_add_co_ci_u32_e64 v12, s5, 0, v10, s5
	v_sub_co_u32 v13, s5, v5, s38
	v_sub_co_ci_u32_e32 v6, vcc_lo, v8, v6, vcc_lo
	v_subrev_co_ci_u32_e64 v7, s5, 0, v7, s5
	v_cmp_le_u32_e32 vcc_lo, s38, v13
	s_delay_alu instid0(VALU_DEP_3) | instskip(SKIP_1) | instid1(VALU_DEP_4)
	v_cmp_eq_u32_e64 s5, s39, v6
	v_cndmask_b32_e64 v8, 0, -1, vcc_lo
	v_cmp_le_u32_e32 vcc_lo, s39, v7
	v_cndmask_b32_e64 v13, 0, -1, vcc_lo
	v_cmp_le_u32_e32 vcc_lo, s38, v5
	;; [unrolled: 2-line block ×3, first 2 shown]
	v_cndmask_b32_e64 v14, 0, -1, vcc_lo
	v_cmp_eq_u32_e32 vcc_lo, s39, v7
	s_delay_alu instid0(VALU_DEP_2) | instskip(SKIP_3) | instid1(VALU_DEP_3)
	v_cndmask_b32_e64 v5, v14, v5, s5
	v_cndmask_b32_e32 v7, v13, v8, vcc_lo
	v_add_co_u32 v8, vcc_lo, v9, 1
	v_add_co_ci_u32_e32 v13, vcc_lo, 0, v10, vcc_lo
	v_cmp_ne_u32_e32 vcc_lo, 0, v7
	s_delay_alu instid0(VALU_DEP_2) | instskip(SKIP_1) | instid1(VALU_DEP_2)
	v_dual_cndmask_b32 v6, v13, v12 :: v_dual_cndmask_b32 v7, v8, v11
	v_cmp_ne_u32_e32 vcc_lo, 0, v5
	v_dual_cndmask_b32 v6, v10, v6 :: v_dual_cndmask_b32 v5, v9, v7
                                        ; implicit-def: $vgpr7
.LBB32_19:
	s_and_not1_saveexec_b32 s5, s7
	s_cbranch_execz .LBB32_21
; %bb.20:
	v_cvt_f32_u32_e32 v5, s38
	s_sub_i32 s7, 0, s38
	s_delay_alu instid0(VALU_DEP_1) | instskip(SKIP_2) | instid1(VALU_DEP_1)
	v_rcp_iflag_f32_e32 v5, v5
	s_waitcnt_depctr 0xfff
	v_mul_f32_e32 v5, 0x4f7ffffe, v5
	v_cvt_u32_f32_e32 v5, v5
	s_delay_alu instid0(VALU_DEP_1) | instskip(NEXT) | instid1(VALU_DEP_1)
	v_mul_lo_u32 v6, s7, v5
	v_mul_hi_u32 v6, v5, v6
	s_delay_alu instid0(VALU_DEP_1) | instskip(NEXT) | instid1(VALU_DEP_1)
	v_add_nc_u32_e32 v5, v5, v6
	v_mul_hi_u32 v5, v7, v5
	s_delay_alu instid0(VALU_DEP_1) | instskip(NEXT) | instid1(VALU_DEP_1)
	v_mul_lo_u32 v6, v5, s38
	v_sub_nc_u32_e32 v6, v7, v6
	v_add_nc_u32_e32 v7, 1, v5
	s_delay_alu instid0(VALU_DEP_2) | instskip(SKIP_1) | instid1(VALU_DEP_2)
	v_subrev_nc_u32_e32 v8, s38, v6
	v_cmp_le_u32_e32 vcc_lo, s38, v6
	v_dual_cndmask_b32 v6, v6, v8 :: v_dual_cndmask_b32 v5, v5, v7
	s_delay_alu instid0(VALU_DEP_1) | instskip(NEXT) | instid1(VALU_DEP_2)
	v_cmp_le_u32_e32 vcc_lo, s38, v6
	v_dual_mov_b32 v6, 0 :: v_dual_add_nc_u32 v7, 1, v5
	s_delay_alu instid0(VALU_DEP_1)
	v_cndmask_b32_e32 v5, v5, v7, vcc_lo
.LBB32_21:
	s_or_b32 exec_lo, exec_lo, s5
.LBB32_22:
	s_delay_alu instid0(SALU_CYCLE_1) | instskip(SKIP_2) | instid1(VALU_DEP_2)
	s_or_b32 exec_lo, exec_lo, s6
	v_or_b32_e32 v39, 0x300, v0
	v_dual_mov_b32 v7, v33 :: v_dual_mov_b32 v8, v34
	v_cmp_gt_u32_e64 s5, s49, v39
	s_delay_alu instid0(VALU_DEP_1)
	s_and_saveexec_b32 s7, s5
	s_cbranch_execz .LBB32_28
; %bb.23:
	v_add_co_u32 v9, s6, s36, v39
	s_delay_alu instid0(VALU_DEP_1) | instskip(SKIP_1) | instid1(VALU_DEP_2)
	v_add_co_ci_u32_e64 v10, null, s37, 0, s6
	v_mov_b32_e32 v7, 0
	v_or_b32_e32 v8, s39, v10
	s_delay_alu instid0(VALU_DEP_1) | instskip(SKIP_1) | instid1(SALU_CYCLE_1)
	v_cmp_ne_u64_e32 vcc_lo, 0, v[7:8]
                                        ; implicit-def: $vgpr7_vgpr8
	s_and_saveexec_b32 s6, vcc_lo
	s_xor_b32 s8, exec_lo, s6
	s_cbranch_execz .LBB32_25
; %bb.24:
	v_cvt_f32_u32_e32 v7, s38
	v_cvt_f32_u32_e32 v8, s39
	s_sub_u32 s6, 0, s38
	s_subb_u32 s9, 0, s39
	s_delay_alu instid0(VALU_DEP_1) | instskip(NEXT) | instid1(VALU_DEP_1)
	v_fmamk_f32 v7, v8, 0x4f800000, v7
	v_rcp_f32_e32 v7, v7
	s_waitcnt_depctr 0xfff
	v_mul_f32_e32 v7, 0x5f7ffffc, v7
	s_delay_alu instid0(VALU_DEP_1) | instskip(NEXT) | instid1(VALU_DEP_1)
	v_mul_f32_e32 v8, 0x2f800000, v7
	v_trunc_f32_e32 v8, v8
	s_delay_alu instid0(VALU_DEP_1) | instskip(SKIP_1) | instid1(VALU_DEP_2)
	v_fmamk_f32 v7, v8, 0xcf800000, v7
	v_cvt_u32_f32_e32 v8, v8
	v_cvt_u32_f32_e32 v7, v7
	s_delay_alu instid0(VALU_DEP_2) | instskip(NEXT) | instid1(VALU_DEP_2)
	v_mul_lo_u32 v11, s6, v8
	v_mul_hi_u32 v12, s6, v7
	v_mul_lo_u32 v13, s9, v7
	s_delay_alu instid0(VALU_DEP_2) | instskip(SKIP_1) | instid1(VALU_DEP_2)
	v_add_nc_u32_e32 v11, v12, v11
	v_mul_lo_u32 v12, s6, v7
	v_add_nc_u32_e32 v11, v11, v13
	s_delay_alu instid0(VALU_DEP_2) | instskip(NEXT) | instid1(VALU_DEP_2)
	v_mul_hi_u32 v13, v7, v12
	v_mul_lo_u32 v14, v7, v11
	v_mul_hi_u32 v15, v7, v11
	v_mul_hi_u32 v16, v8, v12
	v_mul_lo_u32 v12, v8, v12
	v_mul_hi_u32 v17, v8, v11
	v_mul_lo_u32 v11, v8, v11
	v_add_co_u32 v13, vcc_lo, v13, v14
	v_add_co_ci_u32_e32 v14, vcc_lo, 0, v15, vcc_lo
	s_delay_alu instid0(VALU_DEP_2) | instskip(NEXT) | instid1(VALU_DEP_2)
	v_add_co_u32 v12, vcc_lo, v13, v12
	v_add_co_ci_u32_e32 v12, vcc_lo, v14, v16, vcc_lo
	v_add_co_ci_u32_e32 v13, vcc_lo, 0, v17, vcc_lo
	s_delay_alu instid0(VALU_DEP_2) | instskip(NEXT) | instid1(VALU_DEP_2)
	v_add_co_u32 v11, vcc_lo, v12, v11
	v_add_co_ci_u32_e32 v12, vcc_lo, 0, v13, vcc_lo
	s_delay_alu instid0(VALU_DEP_2) | instskip(NEXT) | instid1(VALU_DEP_2)
	v_add_co_u32 v7, vcc_lo, v7, v11
	v_add_co_ci_u32_e32 v8, vcc_lo, v8, v12, vcc_lo
	s_delay_alu instid0(VALU_DEP_2) | instskip(SKIP_1) | instid1(VALU_DEP_3)
	v_mul_hi_u32 v11, s6, v7
	v_mul_lo_u32 v13, s9, v7
	v_mul_lo_u32 v12, s6, v8
	s_delay_alu instid0(VALU_DEP_1) | instskip(SKIP_1) | instid1(VALU_DEP_2)
	v_add_nc_u32_e32 v11, v11, v12
	v_mul_lo_u32 v12, s6, v7
	v_add_nc_u32_e32 v11, v11, v13
	s_delay_alu instid0(VALU_DEP_2) | instskip(NEXT) | instid1(VALU_DEP_2)
	v_mul_hi_u32 v13, v7, v12
	v_mul_lo_u32 v14, v7, v11
	v_mul_hi_u32 v15, v7, v11
	v_mul_hi_u32 v16, v8, v12
	v_mul_lo_u32 v12, v8, v12
	v_mul_hi_u32 v17, v8, v11
	v_mul_lo_u32 v11, v8, v11
	v_add_co_u32 v13, vcc_lo, v13, v14
	v_add_co_ci_u32_e32 v14, vcc_lo, 0, v15, vcc_lo
	s_delay_alu instid0(VALU_DEP_2) | instskip(NEXT) | instid1(VALU_DEP_2)
	v_add_co_u32 v12, vcc_lo, v13, v12
	v_add_co_ci_u32_e32 v12, vcc_lo, v14, v16, vcc_lo
	v_add_co_ci_u32_e32 v13, vcc_lo, 0, v17, vcc_lo
	s_delay_alu instid0(VALU_DEP_2) | instskip(NEXT) | instid1(VALU_DEP_2)
	v_add_co_u32 v11, vcc_lo, v12, v11
	v_add_co_ci_u32_e32 v12, vcc_lo, 0, v13, vcc_lo
	s_delay_alu instid0(VALU_DEP_2) | instskip(NEXT) | instid1(VALU_DEP_2)
	v_add_co_u32 v13, vcc_lo, v7, v11
	v_add_co_ci_u32_e32 v15, vcc_lo, v8, v12, vcc_lo
	s_delay_alu instid0(VALU_DEP_2) | instskip(SKIP_1) | instid1(VALU_DEP_3)
	v_mul_hi_u32 v16, v9, v13
	v_mad_u64_u32 v[11:12], null, v10, v13, 0
	v_mad_u64_u32 v[7:8], null, v9, v15, 0
	;; [unrolled: 1-line block ×3, first 2 shown]
	s_delay_alu instid0(VALU_DEP_2) | instskip(NEXT) | instid1(VALU_DEP_3)
	v_add_co_u32 v7, vcc_lo, v16, v7
	v_add_co_ci_u32_e32 v8, vcc_lo, 0, v8, vcc_lo
	s_delay_alu instid0(VALU_DEP_2) | instskip(NEXT) | instid1(VALU_DEP_2)
	v_add_co_u32 v7, vcc_lo, v7, v11
	v_add_co_ci_u32_e32 v7, vcc_lo, v8, v12, vcc_lo
	v_add_co_ci_u32_e32 v8, vcc_lo, 0, v14, vcc_lo
	s_delay_alu instid0(VALU_DEP_2) | instskip(NEXT) | instid1(VALU_DEP_2)
	v_add_co_u32 v11, vcc_lo, v7, v13
	v_add_co_ci_u32_e32 v12, vcc_lo, 0, v8, vcc_lo
	s_delay_alu instid0(VALU_DEP_2) | instskip(SKIP_1) | instid1(VALU_DEP_3)
	v_mul_lo_u32 v13, s39, v11
	v_mad_u64_u32 v[7:8], null, s38, v11, 0
	v_mul_lo_u32 v14, s38, v12
	s_delay_alu instid0(VALU_DEP_2) | instskip(NEXT) | instid1(VALU_DEP_2)
	v_sub_co_u32 v7, vcc_lo, v9, v7
	v_add3_u32 v8, v8, v14, v13
	s_delay_alu instid0(VALU_DEP_1) | instskip(NEXT) | instid1(VALU_DEP_1)
	v_sub_nc_u32_e32 v13, v10, v8
	v_subrev_co_ci_u32_e64 v9, s6, s39, v13, vcc_lo
	v_add_co_u32 v13, s6, v11, 2
	s_delay_alu instid0(VALU_DEP_1) | instskip(SKIP_3) | instid1(VALU_DEP_3)
	v_add_co_ci_u32_e64 v14, s6, 0, v12, s6
	v_sub_co_u32 v15, s6, v7, s38
	v_sub_co_ci_u32_e32 v8, vcc_lo, v10, v8, vcc_lo
	v_subrev_co_ci_u32_e64 v9, s6, 0, v9, s6
	v_cmp_le_u32_e32 vcc_lo, s38, v15
	s_delay_alu instid0(VALU_DEP_3) | instskip(SKIP_1) | instid1(VALU_DEP_4)
	v_cmp_eq_u32_e64 s6, s39, v8
	v_cndmask_b32_e64 v10, 0, -1, vcc_lo
	v_cmp_le_u32_e32 vcc_lo, s39, v9
	v_cndmask_b32_e64 v15, 0, -1, vcc_lo
	v_cmp_le_u32_e32 vcc_lo, s38, v7
	;; [unrolled: 2-line block ×3, first 2 shown]
	v_cndmask_b32_e64 v16, 0, -1, vcc_lo
	v_cmp_eq_u32_e32 vcc_lo, s39, v9
	s_delay_alu instid0(VALU_DEP_2) | instskip(SKIP_3) | instid1(VALU_DEP_3)
	v_cndmask_b32_e64 v7, v16, v7, s6
	v_cndmask_b32_e32 v9, v15, v10, vcc_lo
	v_add_co_u32 v10, vcc_lo, v11, 1
	v_add_co_ci_u32_e32 v15, vcc_lo, 0, v12, vcc_lo
	v_cmp_ne_u32_e32 vcc_lo, 0, v9
	s_delay_alu instid0(VALU_DEP_2) | instskip(SKIP_1) | instid1(VALU_DEP_2)
	v_dual_cndmask_b32 v8, v15, v14 :: v_dual_cndmask_b32 v9, v10, v13
	v_cmp_ne_u32_e32 vcc_lo, 0, v7
	v_dual_cndmask_b32 v8, v12, v8 :: v_dual_cndmask_b32 v7, v11, v9
                                        ; implicit-def: $vgpr9
.LBB32_25:
	s_and_not1_saveexec_b32 s6, s8
	s_cbranch_execz .LBB32_27
; %bb.26:
	v_cvt_f32_u32_e32 v7, s38
	s_sub_i32 s8, 0, s38
	s_delay_alu instid0(VALU_DEP_1) | instskip(SKIP_2) | instid1(VALU_DEP_1)
	v_rcp_iflag_f32_e32 v7, v7
	s_waitcnt_depctr 0xfff
	v_mul_f32_e32 v7, 0x4f7ffffe, v7
	v_cvt_u32_f32_e32 v7, v7
	s_delay_alu instid0(VALU_DEP_1) | instskip(NEXT) | instid1(VALU_DEP_1)
	v_mul_lo_u32 v8, s8, v7
	v_mul_hi_u32 v8, v7, v8
	s_delay_alu instid0(VALU_DEP_1) | instskip(NEXT) | instid1(VALU_DEP_1)
	v_add_nc_u32_e32 v7, v7, v8
	v_mul_hi_u32 v7, v9, v7
	s_delay_alu instid0(VALU_DEP_1) | instskip(NEXT) | instid1(VALU_DEP_1)
	v_mul_lo_u32 v8, v7, s38
	v_sub_nc_u32_e32 v8, v9, v8
	v_add_nc_u32_e32 v9, 1, v7
	s_delay_alu instid0(VALU_DEP_2) | instskip(SKIP_1) | instid1(VALU_DEP_2)
	v_subrev_nc_u32_e32 v10, s38, v8
	v_cmp_le_u32_e32 vcc_lo, s38, v8
	v_dual_cndmask_b32 v8, v8, v10 :: v_dual_cndmask_b32 v7, v7, v9
	s_delay_alu instid0(VALU_DEP_1) | instskip(NEXT) | instid1(VALU_DEP_2)
	v_cmp_le_u32_e32 vcc_lo, s38, v8
	v_dual_mov_b32 v8, 0 :: v_dual_add_nc_u32 v9, 1, v7
	s_delay_alu instid0(VALU_DEP_1)
	v_cndmask_b32_e32 v7, v7, v9, vcc_lo
.LBB32_27:
	s_or_b32 exec_lo, exec_lo, s6
.LBB32_28:
	s_delay_alu instid0(SALU_CYCLE_1) | instskip(SKIP_2) | instid1(VALU_DEP_2)
	s_or_b32 exec_lo, exec_lo, s7
	v_or_b32_e32 v36, 0x400, v0
	v_dual_mov_b32 v9, v33 :: v_dual_mov_b32 v10, v34
	v_cmp_gt_u32_e64 s6, s49, v36
	s_delay_alu instid0(VALU_DEP_1)
	s_and_saveexec_b32 s8, s6
	s_cbranch_execz .LBB32_34
; %bb.29:
	v_add_co_u32 v11, s7, s36, v36
	s_delay_alu instid0(VALU_DEP_1) | instskip(SKIP_1) | instid1(VALU_DEP_2)
	v_add_co_ci_u32_e64 v12, null, s37, 0, s7
	v_mov_b32_e32 v9, 0
	v_or_b32_e32 v10, s39, v12
	s_delay_alu instid0(VALU_DEP_1) | instskip(SKIP_1) | instid1(SALU_CYCLE_1)
	v_cmp_ne_u64_e32 vcc_lo, 0, v[9:10]
                                        ; implicit-def: $vgpr9_vgpr10
	s_and_saveexec_b32 s7, vcc_lo
	s_xor_b32 s9, exec_lo, s7
	s_cbranch_execz .LBB32_31
; %bb.30:
	v_cvt_f32_u32_e32 v9, s38
	v_cvt_f32_u32_e32 v10, s39
	s_sub_u32 s7, 0, s38
	s_subb_u32 s10, 0, s39
	s_delay_alu instid0(VALU_DEP_1) | instskip(NEXT) | instid1(VALU_DEP_1)
	v_fmamk_f32 v9, v10, 0x4f800000, v9
	v_rcp_f32_e32 v9, v9
	s_waitcnt_depctr 0xfff
	v_mul_f32_e32 v9, 0x5f7ffffc, v9
	s_delay_alu instid0(VALU_DEP_1) | instskip(NEXT) | instid1(VALU_DEP_1)
	v_mul_f32_e32 v10, 0x2f800000, v9
	v_trunc_f32_e32 v10, v10
	s_delay_alu instid0(VALU_DEP_1) | instskip(SKIP_1) | instid1(VALU_DEP_2)
	v_fmamk_f32 v9, v10, 0xcf800000, v9
	v_cvt_u32_f32_e32 v10, v10
	v_cvt_u32_f32_e32 v9, v9
	s_delay_alu instid0(VALU_DEP_2) | instskip(NEXT) | instid1(VALU_DEP_2)
	v_mul_lo_u32 v13, s7, v10
	v_mul_hi_u32 v14, s7, v9
	v_mul_lo_u32 v15, s10, v9
	s_delay_alu instid0(VALU_DEP_2) | instskip(SKIP_1) | instid1(VALU_DEP_2)
	v_add_nc_u32_e32 v13, v14, v13
	v_mul_lo_u32 v14, s7, v9
	v_add_nc_u32_e32 v13, v13, v15
	s_delay_alu instid0(VALU_DEP_2) | instskip(NEXT) | instid1(VALU_DEP_2)
	v_mul_hi_u32 v15, v9, v14
	v_mul_lo_u32 v16, v9, v13
	v_mul_hi_u32 v17, v9, v13
	v_mul_hi_u32 v18, v10, v14
	v_mul_lo_u32 v14, v10, v14
	v_mul_hi_u32 v19, v10, v13
	v_mul_lo_u32 v13, v10, v13
	v_add_co_u32 v15, vcc_lo, v15, v16
	v_add_co_ci_u32_e32 v16, vcc_lo, 0, v17, vcc_lo
	s_delay_alu instid0(VALU_DEP_2) | instskip(NEXT) | instid1(VALU_DEP_2)
	v_add_co_u32 v14, vcc_lo, v15, v14
	v_add_co_ci_u32_e32 v14, vcc_lo, v16, v18, vcc_lo
	v_add_co_ci_u32_e32 v15, vcc_lo, 0, v19, vcc_lo
	s_delay_alu instid0(VALU_DEP_2) | instskip(NEXT) | instid1(VALU_DEP_2)
	v_add_co_u32 v13, vcc_lo, v14, v13
	v_add_co_ci_u32_e32 v14, vcc_lo, 0, v15, vcc_lo
	s_delay_alu instid0(VALU_DEP_2) | instskip(NEXT) | instid1(VALU_DEP_2)
	v_add_co_u32 v9, vcc_lo, v9, v13
	v_add_co_ci_u32_e32 v10, vcc_lo, v10, v14, vcc_lo
	s_delay_alu instid0(VALU_DEP_2) | instskip(SKIP_1) | instid1(VALU_DEP_3)
	v_mul_hi_u32 v13, s7, v9
	v_mul_lo_u32 v15, s10, v9
	v_mul_lo_u32 v14, s7, v10
	s_delay_alu instid0(VALU_DEP_1) | instskip(SKIP_1) | instid1(VALU_DEP_2)
	v_add_nc_u32_e32 v13, v13, v14
	v_mul_lo_u32 v14, s7, v9
	v_add_nc_u32_e32 v13, v13, v15
	s_delay_alu instid0(VALU_DEP_2) | instskip(NEXT) | instid1(VALU_DEP_2)
	v_mul_hi_u32 v15, v9, v14
	v_mul_lo_u32 v16, v9, v13
	v_mul_hi_u32 v17, v9, v13
	v_mul_hi_u32 v18, v10, v14
	v_mul_lo_u32 v14, v10, v14
	v_mul_hi_u32 v19, v10, v13
	v_mul_lo_u32 v13, v10, v13
	v_add_co_u32 v15, vcc_lo, v15, v16
	v_add_co_ci_u32_e32 v16, vcc_lo, 0, v17, vcc_lo
	s_delay_alu instid0(VALU_DEP_2) | instskip(NEXT) | instid1(VALU_DEP_2)
	v_add_co_u32 v14, vcc_lo, v15, v14
	v_add_co_ci_u32_e32 v14, vcc_lo, v16, v18, vcc_lo
	v_add_co_ci_u32_e32 v15, vcc_lo, 0, v19, vcc_lo
	s_delay_alu instid0(VALU_DEP_2) | instskip(NEXT) | instid1(VALU_DEP_2)
	v_add_co_u32 v13, vcc_lo, v14, v13
	v_add_co_ci_u32_e32 v14, vcc_lo, 0, v15, vcc_lo
	s_delay_alu instid0(VALU_DEP_2) | instskip(NEXT) | instid1(VALU_DEP_2)
	v_add_co_u32 v15, vcc_lo, v9, v13
	v_add_co_ci_u32_e32 v17, vcc_lo, v10, v14, vcc_lo
	s_delay_alu instid0(VALU_DEP_2) | instskip(SKIP_1) | instid1(VALU_DEP_3)
	v_mul_hi_u32 v18, v11, v15
	v_mad_u64_u32 v[13:14], null, v12, v15, 0
	v_mad_u64_u32 v[9:10], null, v11, v17, 0
	;; [unrolled: 1-line block ×3, first 2 shown]
	s_delay_alu instid0(VALU_DEP_2) | instskip(NEXT) | instid1(VALU_DEP_3)
	v_add_co_u32 v9, vcc_lo, v18, v9
	v_add_co_ci_u32_e32 v10, vcc_lo, 0, v10, vcc_lo
	s_delay_alu instid0(VALU_DEP_2) | instskip(NEXT) | instid1(VALU_DEP_2)
	v_add_co_u32 v9, vcc_lo, v9, v13
	v_add_co_ci_u32_e32 v9, vcc_lo, v10, v14, vcc_lo
	v_add_co_ci_u32_e32 v10, vcc_lo, 0, v16, vcc_lo
	s_delay_alu instid0(VALU_DEP_2) | instskip(NEXT) | instid1(VALU_DEP_2)
	v_add_co_u32 v13, vcc_lo, v9, v15
	v_add_co_ci_u32_e32 v14, vcc_lo, 0, v10, vcc_lo
	s_delay_alu instid0(VALU_DEP_2) | instskip(SKIP_1) | instid1(VALU_DEP_3)
	v_mul_lo_u32 v15, s39, v13
	v_mad_u64_u32 v[9:10], null, s38, v13, 0
	v_mul_lo_u32 v16, s38, v14
	s_delay_alu instid0(VALU_DEP_2) | instskip(NEXT) | instid1(VALU_DEP_2)
	v_sub_co_u32 v9, vcc_lo, v11, v9
	v_add3_u32 v10, v10, v16, v15
	s_delay_alu instid0(VALU_DEP_1) | instskip(NEXT) | instid1(VALU_DEP_1)
	v_sub_nc_u32_e32 v15, v12, v10
	v_subrev_co_ci_u32_e64 v11, s7, s39, v15, vcc_lo
	v_add_co_u32 v15, s7, v13, 2
	s_delay_alu instid0(VALU_DEP_1) | instskip(SKIP_3) | instid1(VALU_DEP_3)
	v_add_co_ci_u32_e64 v16, s7, 0, v14, s7
	v_sub_co_u32 v17, s7, v9, s38
	v_sub_co_ci_u32_e32 v10, vcc_lo, v12, v10, vcc_lo
	v_subrev_co_ci_u32_e64 v11, s7, 0, v11, s7
	v_cmp_le_u32_e32 vcc_lo, s38, v17
	s_delay_alu instid0(VALU_DEP_3) | instskip(SKIP_1) | instid1(VALU_DEP_4)
	v_cmp_eq_u32_e64 s7, s39, v10
	v_cndmask_b32_e64 v12, 0, -1, vcc_lo
	v_cmp_le_u32_e32 vcc_lo, s39, v11
	v_cndmask_b32_e64 v17, 0, -1, vcc_lo
	v_cmp_le_u32_e32 vcc_lo, s38, v9
	;; [unrolled: 2-line block ×3, first 2 shown]
	v_cndmask_b32_e64 v18, 0, -1, vcc_lo
	v_cmp_eq_u32_e32 vcc_lo, s39, v11
	s_delay_alu instid0(VALU_DEP_2) | instskip(SKIP_3) | instid1(VALU_DEP_3)
	v_cndmask_b32_e64 v9, v18, v9, s7
	v_cndmask_b32_e32 v11, v17, v12, vcc_lo
	v_add_co_u32 v12, vcc_lo, v13, 1
	v_add_co_ci_u32_e32 v17, vcc_lo, 0, v14, vcc_lo
	v_cmp_ne_u32_e32 vcc_lo, 0, v11
	s_delay_alu instid0(VALU_DEP_2) | instskip(SKIP_1) | instid1(VALU_DEP_2)
	v_dual_cndmask_b32 v10, v17, v16 :: v_dual_cndmask_b32 v11, v12, v15
	v_cmp_ne_u32_e32 vcc_lo, 0, v9
	v_dual_cndmask_b32 v10, v14, v10 :: v_dual_cndmask_b32 v9, v13, v11
                                        ; implicit-def: $vgpr11
.LBB32_31:
	s_and_not1_saveexec_b32 s7, s9
	s_cbranch_execz .LBB32_33
; %bb.32:
	v_cvt_f32_u32_e32 v9, s38
	s_sub_i32 s9, 0, s38
	s_delay_alu instid0(VALU_DEP_1) | instskip(SKIP_2) | instid1(VALU_DEP_1)
	v_rcp_iflag_f32_e32 v9, v9
	s_waitcnt_depctr 0xfff
	v_mul_f32_e32 v9, 0x4f7ffffe, v9
	v_cvt_u32_f32_e32 v9, v9
	s_delay_alu instid0(VALU_DEP_1) | instskip(NEXT) | instid1(VALU_DEP_1)
	v_mul_lo_u32 v10, s9, v9
	v_mul_hi_u32 v10, v9, v10
	s_delay_alu instid0(VALU_DEP_1) | instskip(NEXT) | instid1(VALU_DEP_1)
	v_add_nc_u32_e32 v9, v9, v10
	v_mul_hi_u32 v9, v11, v9
	s_delay_alu instid0(VALU_DEP_1) | instskip(NEXT) | instid1(VALU_DEP_1)
	v_mul_lo_u32 v10, v9, s38
	v_sub_nc_u32_e32 v10, v11, v10
	v_add_nc_u32_e32 v11, 1, v9
	s_delay_alu instid0(VALU_DEP_2) | instskip(SKIP_1) | instid1(VALU_DEP_2)
	v_subrev_nc_u32_e32 v12, s38, v10
	v_cmp_le_u32_e32 vcc_lo, s38, v10
	v_dual_cndmask_b32 v10, v10, v12 :: v_dual_cndmask_b32 v9, v9, v11
	s_delay_alu instid0(VALU_DEP_1) | instskip(NEXT) | instid1(VALU_DEP_2)
	v_cmp_le_u32_e32 vcc_lo, s38, v10
	v_dual_mov_b32 v10, 0 :: v_dual_add_nc_u32 v11, 1, v9
	s_delay_alu instid0(VALU_DEP_1)
	v_cndmask_b32_e32 v9, v9, v11, vcc_lo
.LBB32_33:
	s_or_b32 exec_lo, exec_lo, s7
.LBB32_34:
	s_delay_alu instid0(SALU_CYCLE_1) | instskip(SKIP_2) | instid1(VALU_DEP_2)
	s_or_b32 exec_lo, exec_lo, s8
	v_or_b32_e32 v38, 0x500, v0
	v_dual_mov_b32 v11, v33 :: v_dual_mov_b32 v12, v34
	v_cmp_gt_u32_e64 s7, s49, v38
	s_delay_alu instid0(VALU_DEP_1)
	s_and_saveexec_b32 s9, s7
	s_cbranch_execz .LBB32_40
; %bb.35:
	v_add_co_u32 v13, s8, s36, v38
	s_delay_alu instid0(VALU_DEP_1) | instskip(SKIP_1) | instid1(VALU_DEP_2)
	v_add_co_ci_u32_e64 v14, null, s37, 0, s8
	v_mov_b32_e32 v11, 0
	v_or_b32_e32 v12, s39, v14
	s_delay_alu instid0(VALU_DEP_1) | instskip(SKIP_1) | instid1(SALU_CYCLE_1)
	v_cmp_ne_u64_e32 vcc_lo, 0, v[11:12]
                                        ; implicit-def: $vgpr11_vgpr12
	s_and_saveexec_b32 s8, vcc_lo
	s_xor_b32 s10, exec_lo, s8
	s_cbranch_execz .LBB32_37
; %bb.36:
	v_cvt_f32_u32_e32 v11, s38
	v_cvt_f32_u32_e32 v12, s39
	s_sub_u32 s8, 0, s38
	s_subb_u32 s11, 0, s39
	s_delay_alu instid0(VALU_DEP_1) | instskip(NEXT) | instid1(VALU_DEP_1)
	v_fmamk_f32 v11, v12, 0x4f800000, v11
	v_rcp_f32_e32 v11, v11
	s_waitcnt_depctr 0xfff
	v_mul_f32_e32 v11, 0x5f7ffffc, v11
	s_delay_alu instid0(VALU_DEP_1) | instskip(NEXT) | instid1(VALU_DEP_1)
	v_mul_f32_e32 v12, 0x2f800000, v11
	v_trunc_f32_e32 v12, v12
	s_delay_alu instid0(VALU_DEP_1) | instskip(SKIP_1) | instid1(VALU_DEP_2)
	v_fmamk_f32 v11, v12, 0xcf800000, v11
	v_cvt_u32_f32_e32 v12, v12
	v_cvt_u32_f32_e32 v11, v11
	s_delay_alu instid0(VALU_DEP_2) | instskip(NEXT) | instid1(VALU_DEP_2)
	v_mul_lo_u32 v15, s8, v12
	v_mul_hi_u32 v16, s8, v11
	v_mul_lo_u32 v17, s11, v11
	s_delay_alu instid0(VALU_DEP_2) | instskip(SKIP_1) | instid1(VALU_DEP_2)
	v_add_nc_u32_e32 v15, v16, v15
	v_mul_lo_u32 v16, s8, v11
	v_add_nc_u32_e32 v15, v15, v17
	s_delay_alu instid0(VALU_DEP_2) | instskip(NEXT) | instid1(VALU_DEP_2)
	v_mul_hi_u32 v17, v11, v16
	v_mul_lo_u32 v18, v11, v15
	v_mul_hi_u32 v19, v11, v15
	v_mul_hi_u32 v20, v12, v16
	v_mul_lo_u32 v16, v12, v16
	v_mul_hi_u32 v21, v12, v15
	v_mul_lo_u32 v15, v12, v15
	v_add_co_u32 v17, vcc_lo, v17, v18
	v_add_co_ci_u32_e32 v18, vcc_lo, 0, v19, vcc_lo
	s_delay_alu instid0(VALU_DEP_2) | instskip(NEXT) | instid1(VALU_DEP_2)
	v_add_co_u32 v16, vcc_lo, v17, v16
	v_add_co_ci_u32_e32 v16, vcc_lo, v18, v20, vcc_lo
	v_add_co_ci_u32_e32 v17, vcc_lo, 0, v21, vcc_lo
	s_delay_alu instid0(VALU_DEP_2) | instskip(NEXT) | instid1(VALU_DEP_2)
	v_add_co_u32 v15, vcc_lo, v16, v15
	v_add_co_ci_u32_e32 v16, vcc_lo, 0, v17, vcc_lo
	s_delay_alu instid0(VALU_DEP_2) | instskip(NEXT) | instid1(VALU_DEP_2)
	v_add_co_u32 v11, vcc_lo, v11, v15
	v_add_co_ci_u32_e32 v12, vcc_lo, v12, v16, vcc_lo
	s_delay_alu instid0(VALU_DEP_2) | instskip(SKIP_1) | instid1(VALU_DEP_3)
	v_mul_hi_u32 v15, s8, v11
	v_mul_lo_u32 v17, s11, v11
	v_mul_lo_u32 v16, s8, v12
	s_delay_alu instid0(VALU_DEP_1) | instskip(SKIP_1) | instid1(VALU_DEP_2)
	v_add_nc_u32_e32 v15, v15, v16
	v_mul_lo_u32 v16, s8, v11
	v_add_nc_u32_e32 v15, v15, v17
	s_delay_alu instid0(VALU_DEP_2) | instskip(NEXT) | instid1(VALU_DEP_2)
	v_mul_hi_u32 v17, v11, v16
	v_mul_lo_u32 v18, v11, v15
	v_mul_hi_u32 v19, v11, v15
	v_mul_hi_u32 v20, v12, v16
	v_mul_lo_u32 v16, v12, v16
	v_mul_hi_u32 v21, v12, v15
	v_mul_lo_u32 v15, v12, v15
	v_add_co_u32 v17, vcc_lo, v17, v18
	v_add_co_ci_u32_e32 v18, vcc_lo, 0, v19, vcc_lo
	s_delay_alu instid0(VALU_DEP_2) | instskip(NEXT) | instid1(VALU_DEP_2)
	v_add_co_u32 v16, vcc_lo, v17, v16
	v_add_co_ci_u32_e32 v16, vcc_lo, v18, v20, vcc_lo
	v_add_co_ci_u32_e32 v17, vcc_lo, 0, v21, vcc_lo
	s_delay_alu instid0(VALU_DEP_2) | instskip(NEXT) | instid1(VALU_DEP_2)
	v_add_co_u32 v15, vcc_lo, v16, v15
	v_add_co_ci_u32_e32 v16, vcc_lo, 0, v17, vcc_lo
	s_delay_alu instid0(VALU_DEP_2) | instskip(NEXT) | instid1(VALU_DEP_2)
	v_add_co_u32 v17, vcc_lo, v11, v15
	v_add_co_ci_u32_e32 v19, vcc_lo, v12, v16, vcc_lo
	s_delay_alu instid0(VALU_DEP_2) | instskip(SKIP_1) | instid1(VALU_DEP_3)
	v_mul_hi_u32 v20, v13, v17
	v_mad_u64_u32 v[15:16], null, v14, v17, 0
	v_mad_u64_u32 v[11:12], null, v13, v19, 0
	v_mad_u64_u32 v[17:18], null, v14, v19, 0
	s_delay_alu instid0(VALU_DEP_2) | instskip(NEXT) | instid1(VALU_DEP_3)
	v_add_co_u32 v11, vcc_lo, v20, v11
	v_add_co_ci_u32_e32 v12, vcc_lo, 0, v12, vcc_lo
	s_delay_alu instid0(VALU_DEP_2) | instskip(NEXT) | instid1(VALU_DEP_2)
	v_add_co_u32 v11, vcc_lo, v11, v15
	v_add_co_ci_u32_e32 v11, vcc_lo, v12, v16, vcc_lo
	v_add_co_ci_u32_e32 v12, vcc_lo, 0, v18, vcc_lo
	s_delay_alu instid0(VALU_DEP_2) | instskip(NEXT) | instid1(VALU_DEP_2)
	v_add_co_u32 v15, vcc_lo, v11, v17
	v_add_co_ci_u32_e32 v16, vcc_lo, 0, v12, vcc_lo
	s_delay_alu instid0(VALU_DEP_2) | instskip(SKIP_1) | instid1(VALU_DEP_3)
	v_mul_lo_u32 v17, s39, v15
	v_mad_u64_u32 v[11:12], null, s38, v15, 0
	v_mul_lo_u32 v18, s38, v16
	s_delay_alu instid0(VALU_DEP_2) | instskip(NEXT) | instid1(VALU_DEP_2)
	v_sub_co_u32 v11, vcc_lo, v13, v11
	v_add3_u32 v12, v12, v18, v17
	s_delay_alu instid0(VALU_DEP_1) | instskip(NEXT) | instid1(VALU_DEP_1)
	v_sub_nc_u32_e32 v17, v14, v12
	v_subrev_co_ci_u32_e64 v13, s8, s39, v17, vcc_lo
	v_add_co_u32 v17, s8, v15, 2
	s_delay_alu instid0(VALU_DEP_1) | instskip(SKIP_3) | instid1(VALU_DEP_3)
	v_add_co_ci_u32_e64 v18, s8, 0, v16, s8
	v_sub_co_u32 v19, s8, v11, s38
	v_sub_co_ci_u32_e32 v12, vcc_lo, v14, v12, vcc_lo
	v_subrev_co_ci_u32_e64 v13, s8, 0, v13, s8
	v_cmp_le_u32_e32 vcc_lo, s38, v19
	s_delay_alu instid0(VALU_DEP_3) | instskip(SKIP_1) | instid1(VALU_DEP_4)
	v_cmp_eq_u32_e64 s8, s39, v12
	v_cndmask_b32_e64 v14, 0, -1, vcc_lo
	v_cmp_le_u32_e32 vcc_lo, s39, v13
	v_cndmask_b32_e64 v19, 0, -1, vcc_lo
	v_cmp_le_u32_e32 vcc_lo, s38, v11
	;; [unrolled: 2-line block ×3, first 2 shown]
	v_cndmask_b32_e64 v20, 0, -1, vcc_lo
	v_cmp_eq_u32_e32 vcc_lo, s39, v13
	s_delay_alu instid0(VALU_DEP_2) | instskip(SKIP_3) | instid1(VALU_DEP_3)
	v_cndmask_b32_e64 v11, v20, v11, s8
	v_cndmask_b32_e32 v13, v19, v14, vcc_lo
	v_add_co_u32 v14, vcc_lo, v15, 1
	v_add_co_ci_u32_e32 v19, vcc_lo, 0, v16, vcc_lo
	v_cmp_ne_u32_e32 vcc_lo, 0, v13
	s_delay_alu instid0(VALU_DEP_2) | instskip(SKIP_1) | instid1(VALU_DEP_2)
	v_dual_cndmask_b32 v12, v19, v18 :: v_dual_cndmask_b32 v13, v14, v17
	v_cmp_ne_u32_e32 vcc_lo, 0, v11
	v_dual_cndmask_b32 v12, v16, v12 :: v_dual_cndmask_b32 v11, v15, v13
                                        ; implicit-def: $vgpr13
.LBB32_37:
	s_and_not1_saveexec_b32 s8, s10
	s_cbranch_execz .LBB32_39
; %bb.38:
	v_cvt_f32_u32_e32 v11, s38
	s_sub_i32 s10, 0, s38
	s_delay_alu instid0(VALU_DEP_1) | instskip(SKIP_2) | instid1(VALU_DEP_1)
	v_rcp_iflag_f32_e32 v11, v11
	s_waitcnt_depctr 0xfff
	v_mul_f32_e32 v11, 0x4f7ffffe, v11
	v_cvt_u32_f32_e32 v11, v11
	s_delay_alu instid0(VALU_DEP_1) | instskip(NEXT) | instid1(VALU_DEP_1)
	v_mul_lo_u32 v12, s10, v11
	v_mul_hi_u32 v12, v11, v12
	s_delay_alu instid0(VALU_DEP_1) | instskip(NEXT) | instid1(VALU_DEP_1)
	v_add_nc_u32_e32 v11, v11, v12
	v_mul_hi_u32 v11, v13, v11
	s_delay_alu instid0(VALU_DEP_1) | instskip(NEXT) | instid1(VALU_DEP_1)
	v_mul_lo_u32 v12, v11, s38
	v_sub_nc_u32_e32 v12, v13, v12
	v_add_nc_u32_e32 v13, 1, v11
	s_delay_alu instid0(VALU_DEP_2) | instskip(SKIP_1) | instid1(VALU_DEP_2)
	v_subrev_nc_u32_e32 v14, s38, v12
	v_cmp_le_u32_e32 vcc_lo, s38, v12
	v_dual_cndmask_b32 v12, v12, v14 :: v_dual_cndmask_b32 v11, v11, v13
	s_delay_alu instid0(VALU_DEP_1) | instskip(NEXT) | instid1(VALU_DEP_2)
	v_cmp_le_u32_e32 vcc_lo, s38, v12
	v_dual_mov_b32 v12, 0 :: v_dual_add_nc_u32 v13, 1, v11
	s_delay_alu instid0(VALU_DEP_1)
	v_cndmask_b32_e32 v11, v11, v13, vcc_lo
.LBB32_39:
	s_or_b32 exec_lo, exec_lo, s8
.LBB32_40:
	s_delay_alu instid0(SALU_CYCLE_1) | instskip(SKIP_2) | instid1(VALU_DEP_2)
	s_or_b32 exec_lo, exec_lo, s9
	v_or_b32_e32 v40, 0x600, v0
	v_dual_mov_b32 v13, v33 :: v_dual_mov_b32 v14, v34
	v_cmp_gt_u32_e64 s8, s49, v40
	s_delay_alu instid0(VALU_DEP_1)
	s_and_saveexec_b32 s10, s8
	s_cbranch_execz .LBB32_46
; %bb.41:
	v_add_co_u32 v15, s9, s36, v40
	s_delay_alu instid0(VALU_DEP_1) | instskip(SKIP_1) | instid1(VALU_DEP_2)
	v_add_co_ci_u32_e64 v16, null, s37, 0, s9
	v_mov_b32_e32 v13, 0
	v_or_b32_e32 v14, s39, v16
	s_delay_alu instid0(VALU_DEP_1) | instskip(SKIP_1) | instid1(SALU_CYCLE_1)
	v_cmp_ne_u64_e32 vcc_lo, 0, v[13:14]
                                        ; implicit-def: $vgpr13_vgpr14
	s_and_saveexec_b32 s9, vcc_lo
	s_xor_b32 s11, exec_lo, s9
	s_cbranch_execz .LBB32_43
; %bb.42:
	v_cvt_f32_u32_e32 v13, s38
	v_cvt_f32_u32_e32 v14, s39
	s_sub_u32 s9, 0, s38
	s_subb_u32 s12, 0, s39
	s_delay_alu instid0(VALU_DEP_1) | instskip(NEXT) | instid1(VALU_DEP_1)
	v_fmamk_f32 v13, v14, 0x4f800000, v13
	v_rcp_f32_e32 v13, v13
	s_waitcnt_depctr 0xfff
	v_mul_f32_e32 v13, 0x5f7ffffc, v13
	s_delay_alu instid0(VALU_DEP_1) | instskip(NEXT) | instid1(VALU_DEP_1)
	v_mul_f32_e32 v14, 0x2f800000, v13
	v_trunc_f32_e32 v14, v14
	s_delay_alu instid0(VALU_DEP_1) | instskip(SKIP_1) | instid1(VALU_DEP_2)
	v_fmamk_f32 v13, v14, 0xcf800000, v13
	v_cvt_u32_f32_e32 v14, v14
	v_cvt_u32_f32_e32 v13, v13
	s_delay_alu instid0(VALU_DEP_2) | instskip(NEXT) | instid1(VALU_DEP_2)
	v_mul_lo_u32 v17, s9, v14
	v_mul_hi_u32 v18, s9, v13
	v_mul_lo_u32 v19, s12, v13
	s_delay_alu instid0(VALU_DEP_2) | instskip(SKIP_1) | instid1(VALU_DEP_2)
	v_add_nc_u32_e32 v17, v18, v17
	v_mul_lo_u32 v18, s9, v13
	v_add_nc_u32_e32 v17, v17, v19
	s_delay_alu instid0(VALU_DEP_2) | instskip(NEXT) | instid1(VALU_DEP_2)
	v_mul_hi_u32 v19, v13, v18
	v_mul_lo_u32 v20, v13, v17
	v_mul_hi_u32 v21, v13, v17
	v_mul_hi_u32 v22, v14, v18
	v_mul_lo_u32 v18, v14, v18
	v_mul_hi_u32 v23, v14, v17
	v_mul_lo_u32 v17, v14, v17
	v_add_co_u32 v19, vcc_lo, v19, v20
	v_add_co_ci_u32_e32 v20, vcc_lo, 0, v21, vcc_lo
	s_delay_alu instid0(VALU_DEP_2) | instskip(NEXT) | instid1(VALU_DEP_2)
	v_add_co_u32 v18, vcc_lo, v19, v18
	v_add_co_ci_u32_e32 v18, vcc_lo, v20, v22, vcc_lo
	v_add_co_ci_u32_e32 v19, vcc_lo, 0, v23, vcc_lo
	s_delay_alu instid0(VALU_DEP_2) | instskip(NEXT) | instid1(VALU_DEP_2)
	v_add_co_u32 v17, vcc_lo, v18, v17
	v_add_co_ci_u32_e32 v18, vcc_lo, 0, v19, vcc_lo
	s_delay_alu instid0(VALU_DEP_2) | instskip(NEXT) | instid1(VALU_DEP_2)
	v_add_co_u32 v13, vcc_lo, v13, v17
	v_add_co_ci_u32_e32 v14, vcc_lo, v14, v18, vcc_lo
	s_delay_alu instid0(VALU_DEP_2) | instskip(SKIP_1) | instid1(VALU_DEP_3)
	v_mul_hi_u32 v17, s9, v13
	v_mul_lo_u32 v19, s12, v13
	v_mul_lo_u32 v18, s9, v14
	s_delay_alu instid0(VALU_DEP_1) | instskip(SKIP_1) | instid1(VALU_DEP_2)
	v_add_nc_u32_e32 v17, v17, v18
	v_mul_lo_u32 v18, s9, v13
	v_add_nc_u32_e32 v17, v17, v19
	s_delay_alu instid0(VALU_DEP_2) | instskip(NEXT) | instid1(VALU_DEP_2)
	v_mul_hi_u32 v19, v13, v18
	v_mul_lo_u32 v20, v13, v17
	v_mul_hi_u32 v21, v13, v17
	v_mul_hi_u32 v22, v14, v18
	v_mul_lo_u32 v18, v14, v18
	v_mul_hi_u32 v23, v14, v17
	v_mul_lo_u32 v17, v14, v17
	v_add_co_u32 v19, vcc_lo, v19, v20
	v_add_co_ci_u32_e32 v20, vcc_lo, 0, v21, vcc_lo
	s_delay_alu instid0(VALU_DEP_2) | instskip(NEXT) | instid1(VALU_DEP_2)
	v_add_co_u32 v18, vcc_lo, v19, v18
	v_add_co_ci_u32_e32 v18, vcc_lo, v20, v22, vcc_lo
	v_add_co_ci_u32_e32 v19, vcc_lo, 0, v23, vcc_lo
	s_delay_alu instid0(VALU_DEP_2) | instskip(NEXT) | instid1(VALU_DEP_2)
	v_add_co_u32 v17, vcc_lo, v18, v17
	v_add_co_ci_u32_e32 v18, vcc_lo, 0, v19, vcc_lo
	s_delay_alu instid0(VALU_DEP_2) | instskip(NEXT) | instid1(VALU_DEP_2)
	v_add_co_u32 v19, vcc_lo, v13, v17
	v_add_co_ci_u32_e32 v21, vcc_lo, v14, v18, vcc_lo
	s_delay_alu instid0(VALU_DEP_2) | instskip(SKIP_1) | instid1(VALU_DEP_3)
	v_mul_hi_u32 v22, v15, v19
	v_mad_u64_u32 v[17:18], null, v16, v19, 0
	v_mad_u64_u32 v[13:14], null, v15, v21, 0
	;; [unrolled: 1-line block ×3, first 2 shown]
	s_delay_alu instid0(VALU_DEP_2) | instskip(NEXT) | instid1(VALU_DEP_3)
	v_add_co_u32 v13, vcc_lo, v22, v13
	v_add_co_ci_u32_e32 v14, vcc_lo, 0, v14, vcc_lo
	s_delay_alu instid0(VALU_DEP_2) | instskip(NEXT) | instid1(VALU_DEP_2)
	v_add_co_u32 v13, vcc_lo, v13, v17
	v_add_co_ci_u32_e32 v13, vcc_lo, v14, v18, vcc_lo
	v_add_co_ci_u32_e32 v14, vcc_lo, 0, v20, vcc_lo
	s_delay_alu instid0(VALU_DEP_2) | instskip(NEXT) | instid1(VALU_DEP_2)
	v_add_co_u32 v17, vcc_lo, v13, v19
	v_add_co_ci_u32_e32 v18, vcc_lo, 0, v14, vcc_lo
	s_delay_alu instid0(VALU_DEP_2) | instskip(SKIP_1) | instid1(VALU_DEP_3)
	v_mul_lo_u32 v19, s39, v17
	v_mad_u64_u32 v[13:14], null, s38, v17, 0
	v_mul_lo_u32 v20, s38, v18
	s_delay_alu instid0(VALU_DEP_2) | instskip(NEXT) | instid1(VALU_DEP_2)
	v_sub_co_u32 v13, vcc_lo, v15, v13
	v_add3_u32 v14, v14, v20, v19
	s_delay_alu instid0(VALU_DEP_1) | instskip(NEXT) | instid1(VALU_DEP_1)
	v_sub_nc_u32_e32 v19, v16, v14
	v_subrev_co_ci_u32_e64 v15, s9, s39, v19, vcc_lo
	v_add_co_u32 v19, s9, v17, 2
	s_delay_alu instid0(VALU_DEP_1) | instskip(SKIP_3) | instid1(VALU_DEP_3)
	v_add_co_ci_u32_e64 v20, s9, 0, v18, s9
	v_sub_co_u32 v21, s9, v13, s38
	v_sub_co_ci_u32_e32 v14, vcc_lo, v16, v14, vcc_lo
	v_subrev_co_ci_u32_e64 v15, s9, 0, v15, s9
	v_cmp_le_u32_e32 vcc_lo, s38, v21
	s_delay_alu instid0(VALU_DEP_3) | instskip(SKIP_1) | instid1(VALU_DEP_4)
	v_cmp_eq_u32_e64 s9, s39, v14
	v_cndmask_b32_e64 v16, 0, -1, vcc_lo
	v_cmp_le_u32_e32 vcc_lo, s39, v15
	v_cndmask_b32_e64 v21, 0, -1, vcc_lo
	v_cmp_le_u32_e32 vcc_lo, s38, v13
	;; [unrolled: 2-line block ×3, first 2 shown]
	v_cndmask_b32_e64 v22, 0, -1, vcc_lo
	v_cmp_eq_u32_e32 vcc_lo, s39, v15
	s_delay_alu instid0(VALU_DEP_2) | instskip(SKIP_3) | instid1(VALU_DEP_3)
	v_cndmask_b32_e64 v13, v22, v13, s9
	v_cndmask_b32_e32 v15, v21, v16, vcc_lo
	v_add_co_u32 v16, vcc_lo, v17, 1
	v_add_co_ci_u32_e32 v21, vcc_lo, 0, v18, vcc_lo
	v_cmp_ne_u32_e32 vcc_lo, 0, v15
	s_delay_alu instid0(VALU_DEP_2) | instskip(SKIP_1) | instid1(VALU_DEP_2)
	v_dual_cndmask_b32 v14, v21, v20 :: v_dual_cndmask_b32 v15, v16, v19
	v_cmp_ne_u32_e32 vcc_lo, 0, v13
	v_dual_cndmask_b32 v14, v18, v14 :: v_dual_cndmask_b32 v13, v17, v15
                                        ; implicit-def: $vgpr15
.LBB32_43:
	s_and_not1_saveexec_b32 s9, s11
	s_cbranch_execz .LBB32_45
; %bb.44:
	v_cvt_f32_u32_e32 v13, s38
	s_sub_i32 s11, 0, s38
	s_delay_alu instid0(VALU_DEP_1) | instskip(SKIP_2) | instid1(VALU_DEP_1)
	v_rcp_iflag_f32_e32 v13, v13
	s_waitcnt_depctr 0xfff
	v_mul_f32_e32 v13, 0x4f7ffffe, v13
	v_cvt_u32_f32_e32 v13, v13
	s_delay_alu instid0(VALU_DEP_1) | instskip(NEXT) | instid1(VALU_DEP_1)
	v_mul_lo_u32 v14, s11, v13
	v_mul_hi_u32 v14, v13, v14
	s_delay_alu instid0(VALU_DEP_1) | instskip(NEXT) | instid1(VALU_DEP_1)
	v_add_nc_u32_e32 v13, v13, v14
	v_mul_hi_u32 v13, v15, v13
	s_delay_alu instid0(VALU_DEP_1) | instskip(NEXT) | instid1(VALU_DEP_1)
	v_mul_lo_u32 v14, v13, s38
	v_sub_nc_u32_e32 v14, v15, v14
	v_add_nc_u32_e32 v15, 1, v13
	s_delay_alu instid0(VALU_DEP_2) | instskip(SKIP_1) | instid1(VALU_DEP_2)
	v_subrev_nc_u32_e32 v16, s38, v14
	v_cmp_le_u32_e32 vcc_lo, s38, v14
	v_dual_cndmask_b32 v14, v14, v16 :: v_dual_cndmask_b32 v13, v13, v15
	s_delay_alu instid0(VALU_DEP_1) | instskip(NEXT) | instid1(VALU_DEP_2)
	v_cmp_le_u32_e32 vcc_lo, s38, v14
	v_dual_mov_b32 v14, 0 :: v_dual_add_nc_u32 v15, 1, v13
	s_delay_alu instid0(VALU_DEP_1)
	v_cndmask_b32_e32 v13, v13, v15, vcc_lo
.LBB32_45:
	s_or_b32 exec_lo, exec_lo, s9
.LBB32_46:
	s_delay_alu instid0(SALU_CYCLE_1) | instskip(SKIP_2) | instid1(VALU_DEP_2)
	s_or_b32 exec_lo, exec_lo, s10
	v_or_b32_e32 v41, 0x700, v0
	v_dual_mov_b32 v15, v33 :: v_dual_mov_b32 v16, v34
	v_cmp_gt_u32_e64 s9, s49, v41
	s_delay_alu instid0(VALU_DEP_1)
	s_and_saveexec_b32 s11, s9
	s_cbranch_execz .LBB32_52
; %bb.47:
	v_add_co_u32 v17, s10, s36, v41
	s_delay_alu instid0(VALU_DEP_1) | instskip(SKIP_1) | instid1(VALU_DEP_2)
	v_add_co_ci_u32_e64 v18, null, s37, 0, s10
	v_mov_b32_e32 v15, 0
	v_or_b32_e32 v16, s39, v18
	s_delay_alu instid0(VALU_DEP_1) | instskip(SKIP_1) | instid1(SALU_CYCLE_1)
	v_cmp_ne_u64_e32 vcc_lo, 0, v[15:16]
                                        ; implicit-def: $vgpr15_vgpr16
	s_and_saveexec_b32 s10, vcc_lo
	s_xor_b32 s12, exec_lo, s10
	s_cbranch_execz .LBB32_49
; %bb.48:
	v_cvt_f32_u32_e32 v15, s38
	v_cvt_f32_u32_e32 v16, s39
	s_sub_u32 s10, 0, s38
	s_subb_u32 s13, 0, s39
	s_delay_alu instid0(VALU_DEP_1) | instskip(NEXT) | instid1(VALU_DEP_1)
	v_fmamk_f32 v15, v16, 0x4f800000, v15
	v_rcp_f32_e32 v15, v15
	s_waitcnt_depctr 0xfff
	v_mul_f32_e32 v15, 0x5f7ffffc, v15
	s_delay_alu instid0(VALU_DEP_1) | instskip(NEXT) | instid1(VALU_DEP_1)
	v_mul_f32_e32 v16, 0x2f800000, v15
	v_trunc_f32_e32 v16, v16
	s_delay_alu instid0(VALU_DEP_1) | instskip(SKIP_1) | instid1(VALU_DEP_2)
	v_fmamk_f32 v15, v16, 0xcf800000, v15
	v_cvt_u32_f32_e32 v16, v16
	v_cvt_u32_f32_e32 v15, v15
	s_delay_alu instid0(VALU_DEP_2) | instskip(NEXT) | instid1(VALU_DEP_2)
	v_mul_lo_u32 v19, s10, v16
	v_mul_hi_u32 v20, s10, v15
	v_mul_lo_u32 v21, s13, v15
	s_delay_alu instid0(VALU_DEP_2) | instskip(SKIP_1) | instid1(VALU_DEP_2)
	v_add_nc_u32_e32 v19, v20, v19
	v_mul_lo_u32 v20, s10, v15
	v_add_nc_u32_e32 v19, v19, v21
	s_delay_alu instid0(VALU_DEP_2) | instskip(NEXT) | instid1(VALU_DEP_2)
	v_mul_hi_u32 v21, v15, v20
	v_mul_lo_u32 v22, v15, v19
	v_mul_hi_u32 v23, v15, v19
	v_mul_hi_u32 v24, v16, v20
	v_mul_lo_u32 v20, v16, v20
	v_mul_hi_u32 v25, v16, v19
	v_mul_lo_u32 v19, v16, v19
	v_add_co_u32 v21, vcc_lo, v21, v22
	v_add_co_ci_u32_e32 v22, vcc_lo, 0, v23, vcc_lo
	s_delay_alu instid0(VALU_DEP_2) | instskip(NEXT) | instid1(VALU_DEP_2)
	v_add_co_u32 v20, vcc_lo, v21, v20
	v_add_co_ci_u32_e32 v20, vcc_lo, v22, v24, vcc_lo
	v_add_co_ci_u32_e32 v21, vcc_lo, 0, v25, vcc_lo
	s_delay_alu instid0(VALU_DEP_2) | instskip(NEXT) | instid1(VALU_DEP_2)
	v_add_co_u32 v19, vcc_lo, v20, v19
	v_add_co_ci_u32_e32 v20, vcc_lo, 0, v21, vcc_lo
	s_delay_alu instid0(VALU_DEP_2) | instskip(NEXT) | instid1(VALU_DEP_2)
	v_add_co_u32 v15, vcc_lo, v15, v19
	v_add_co_ci_u32_e32 v16, vcc_lo, v16, v20, vcc_lo
	s_delay_alu instid0(VALU_DEP_2) | instskip(SKIP_1) | instid1(VALU_DEP_3)
	v_mul_hi_u32 v19, s10, v15
	v_mul_lo_u32 v21, s13, v15
	v_mul_lo_u32 v20, s10, v16
	s_delay_alu instid0(VALU_DEP_1) | instskip(SKIP_1) | instid1(VALU_DEP_2)
	v_add_nc_u32_e32 v19, v19, v20
	v_mul_lo_u32 v20, s10, v15
	v_add_nc_u32_e32 v19, v19, v21
	s_delay_alu instid0(VALU_DEP_2) | instskip(NEXT) | instid1(VALU_DEP_2)
	v_mul_hi_u32 v21, v15, v20
	v_mul_lo_u32 v22, v15, v19
	v_mul_hi_u32 v23, v15, v19
	v_mul_hi_u32 v24, v16, v20
	v_mul_lo_u32 v20, v16, v20
	v_mul_hi_u32 v25, v16, v19
	v_mul_lo_u32 v19, v16, v19
	v_add_co_u32 v21, vcc_lo, v21, v22
	v_add_co_ci_u32_e32 v22, vcc_lo, 0, v23, vcc_lo
	s_delay_alu instid0(VALU_DEP_2) | instskip(NEXT) | instid1(VALU_DEP_2)
	v_add_co_u32 v20, vcc_lo, v21, v20
	v_add_co_ci_u32_e32 v20, vcc_lo, v22, v24, vcc_lo
	v_add_co_ci_u32_e32 v21, vcc_lo, 0, v25, vcc_lo
	s_delay_alu instid0(VALU_DEP_2) | instskip(NEXT) | instid1(VALU_DEP_2)
	v_add_co_u32 v19, vcc_lo, v20, v19
	v_add_co_ci_u32_e32 v20, vcc_lo, 0, v21, vcc_lo
	s_delay_alu instid0(VALU_DEP_2) | instskip(NEXT) | instid1(VALU_DEP_2)
	v_add_co_u32 v21, vcc_lo, v15, v19
	v_add_co_ci_u32_e32 v23, vcc_lo, v16, v20, vcc_lo
	s_delay_alu instid0(VALU_DEP_2) | instskip(SKIP_1) | instid1(VALU_DEP_3)
	v_mul_hi_u32 v24, v17, v21
	v_mad_u64_u32 v[19:20], null, v18, v21, 0
	v_mad_u64_u32 v[15:16], null, v17, v23, 0
	;; [unrolled: 1-line block ×3, first 2 shown]
	s_delay_alu instid0(VALU_DEP_2) | instskip(NEXT) | instid1(VALU_DEP_3)
	v_add_co_u32 v15, vcc_lo, v24, v15
	v_add_co_ci_u32_e32 v16, vcc_lo, 0, v16, vcc_lo
	s_delay_alu instid0(VALU_DEP_2) | instskip(NEXT) | instid1(VALU_DEP_2)
	v_add_co_u32 v15, vcc_lo, v15, v19
	v_add_co_ci_u32_e32 v15, vcc_lo, v16, v20, vcc_lo
	v_add_co_ci_u32_e32 v16, vcc_lo, 0, v22, vcc_lo
	s_delay_alu instid0(VALU_DEP_2) | instskip(NEXT) | instid1(VALU_DEP_2)
	v_add_co_u32 v19, vcc_lo, v15, v21
	v_add_co_ci_u32_e32 v20, vcc_lo, 0, v16, vcc_lo
	s_delay_alu instid0(VALU_DEP_2) | instskip(SKIP_1) | instid1(VALU_DEP_3)
	v_mul_lo_u32 v21, s39, v19
	v_mad_u64_u32 v[15:16], null, s38, v19, 0
	v_mul_lo_u32 v22, s38, v20
	s_delay_alu instid0(VALU_DEP_2) | instskip(NEXT) | instid1(VALU_DEP_2)
	v_sub_co_u32 v15, vcc_lo, v17, v15
	v_add3_u32 v16, v16, v22, v21
	s_delay_alu instid0(VALU_DEP_1) | instskip(NEXT) | instid1(VALU_DEP_1)
	v_sub_nc_u32_e32 v21, v18, v16
	v_subrev_co_ci_u32_e64 v17, s10, s39, v21, vcc_lo
	v_add_co_u32 v21, s10, v19, 2
	s_delay_alu instid0(VALU_DEP_1) | instskip(SKIP_3) | instid1(VALU_DEP_3)
	v_add_co_ci_u32_e64 v22, s10, 0, v20, s10
	v_sub_co_u32 v23, s10, v15, s38
	v_sub_co_ci_u32_e32 v16, vcc_lo, v18, v16, vcc_lo
	v_subrev_co_ci_u32_e64 v17, s10, 0, v17, s10
	v_cmp_le_u32_e32 vcc_lo, s38, v23
	s_delay_alu instid0(VALU_DEP_3) | instskip(SKIP_1) | instid1(VALU_DEP_4)
	v_cmp_eq_u32_e64 s10, s39, v16
	v_cndmask_b32_e64 v18, 0, -1, vcc_lo
	v_cmp_le_u32_e32 vcc_lo, s39, v17
	v_cndmask_b32_e64 v23, 0, -1, vcc_lo
	v_cmp_le_u32_e32 vcc_lo, s38, v15
	;; [unrolled: 2-line block ×3, first 2 shown]
	v_cndmask_b32_e64 v24, 0, -1, vcc_lo
	v_cmp_eq_u32_e32 vcc_lo, s39, v17
	s_delay_alu instid0(VALU_DEP_2) | instskip(SKIP_3) | instid1(VALU_DEP_3)
	v_cndmask_b32_e64 v15, v24, v15, s10
	v_cndmask_b32_e32 v17, v23, v18, vcc_lo
	v_add_co_u32 v18, vcc_lo, v19, 1
	v_add_co_ci_u32_e32 v23, vcc_lo, 0, v20, vcc_lo
	v_cmp_ne_u32_e32 vcc_lo, 0, v17
	s_delay_alu instid0(VALU_DEP_2) | instskip(SKIP_1) | instid1(VALU_DEP_2)
	v_dual_cndmask_b32 v16, v23, v22 :: v_dual_cndmask_b32 v17, v18, v21
	v_cmp_ne_u32_e32 vcc_lo, 0, v15
	v_dual_cndmask_b32 v16, v20, v16 :: v_dual_cndmask_b32 v15, v19, v17
                                        ; implicit-def: $vgpr17
.LBB32_49:
	s_and_not1_saveexec_b32 s10, s12
	s_cbranch_execz .LBB32_51
; %bb.50:
	v_cvt_f32_u32_e32 v15, s38
	s_sub_i32 s12, 0, s38
	s_delay_alu instid0(VALU_DEP_1) | instskip(SKIP_2) | instid1(VALU_DEP_1)
	v_rcp_iflag_f32_e32 v15, v15
	s_waitcnt_depctr 0xfff
	v_mul_f32_e32 v15, 0x4f7ffffe, v15
	v_cvt_u32_f32_e32 v15, v15
	s_delay_alu instid0(VALU_DEP_1) | instskip(NEXT) | instid1(VALU_DEP_1)
	v_mul_lo_u32 v16, s12, v15
	v_mul_hi_u32 v16, v15, v16
	s_delay_alu instid0(VALU_DEP_1) | instskip(NEXT) | instid1(VALU_DEP_1)
	v_add_nc_u32_e32 v15, v15, v16
	v_mul_hi_u32 v15, v17, v15
	s_delay_alu instid0(VALU_DEP_1) | instskip(NEXT) | instid1(VALU_DEP_1)
	v_mul_lo_u32 v16, v15, s38
	v_sub_nc_u32_e32 v16, v17, v16
	v_add_nc_u32_e32 v17, 1, v15
	s_delay_alu instid0(VALU_DEP_2) | instskip(SKIP_1) | instid1(VALU_DEP_2)
	v_subrev_nc_u32_e32 v18, s38, v16
	v_cmp_le_u32_e32 vcc_lo, s38, v16
	v_dual_cndmask_b32 v16, v16, v18 :: v_dual_cndmask_b32 v15, v15, v17
	s_delay_alu instid0(VALU_DEP_1) | instskip(NEXT) | instid1(VALU_DEP_2)
	v_cmp_le_u32_e32 vcc_lo, s38, v16
	v_dual_mov_b32 v16, 0 :: v_dual_add_nc_u32 v17, 1, v15
	s_delay_alu instid0(VALU_DEP_1)
	v_cndmask_b32_e32 v15, v15, v17, vcc_lo
.LBB32_51:
	s_or_b32 exec_lo, exec_lo, s10
.LBB32_52:
	s_delay_alu instid0(SALU_CYCLE_1) | instskip(SKIP_2) | instid1(VALU_DEP_2)
	s_or_b32 exec_lo, exec_lo, s11
	v_or_b32_e32 v42, 0x800, v0
	v_dual_mov_b32 v17, v33 :: v_dual_mov_b32 v18, v34
	v_cmp_gt_u32_e64 s10, s49, v42
	s_delay_alu instid0(VALU_DEP_1)
	s_and_saveexec_b32 s12, s10
	s_cbranch_execz .LBB32_58
; %bb.53:
	v_add_co_u32 v19, s11, s36, v42
	s_delay_alu instid0(VALU_DEP_1) | instskip(SKIP_1) | instid1(VALU_DEP_2)
	v_add_co_ci_u32_e64 v20, null, s37, 0, s11
	v_mov_b32_e32 v17, 0
	v_or_b32_e32 v18, s39, v20
	s_delay_alu instid0(VALU_DEP_1) | instskip(SKIP_1) | instid1(SALU_CYCLE_1)
	v_cmp_ne_u64_e32 vcc_lo, 0, v[17:18]
                                        ; implicit-def: $vgpr17_vgpr18
	s_and_saveexec_b32 s11, vcc_lo
	s_xor_b32 s13, exec_lo, s11
	s_cbranch_execz .LBB32_55
; %bb.54:
	v_cvt_f32_u32_e32 v17, s38
	v_cvt_f32_u32_e32 v18, s39
	s_sub_u32 s11, 0, s38
	s_subb_u32 s14, 0, s39
	s_delay_alu instid0(VALU_DEP_1) | instskip(NEXT) | instid1(VALU_DEP_1)
	v_fmamk_f32 v17, v18, 0x4f800000, v17
	v_rcp_f32_e32 v17, v17
	s_waitcnt_depctr 0xfff
	v_mul_f32_e32 v17, 0x5f7ffffc, v17
	s_delay_alu instid0(VALU_DEP_1) | instskip(NEXT) | instid1(VALU_DEP_1)
	v_mul_f32_e32 v18, 0x2f800000, v17
	v_trunc_f32_e32 v18, v18
	s_delay_alu instid0(VALU_DEP_1) | instskip(SKIP_1) | instid1(VALU_DEP_2)
	v_fmamk_f32 v17, v18, 0xcf800000, v17
	v_cvt_u32_f32_e32 v18, v18
	v_cvt_u32_f32_e32 v17, v17
	s_delay_alu instid0(VALU_DEP_2) | instskip(NEXT) | instid1(VALU_DEP_2)
	v_mul_lo_u32 v21, s11, v18
	v_mul_hi_u32 v22, s11, v17
	v_mul_lo_u32 v23, s14, v17
	s_delay_alu instid0(VALU_DEP_2) | instskip(SKIP_1) | instid1(VALU_DEP_2)
	v_add_nc_u32_e32 v21, v22, v21
	v_mul_lo_u32 v22, s11, v17
	v_add_nc_u32_e32 v21, v21, v23
	s_delay_alu instid0(VALU_DEP_2) | instskip(NEXT) | instid1(VALU_DEP_2)
	v_mul_hi_u32 v23, v17, v22
	v_mul_lo_u32 v24, v17, v21
	v_mul_hi_u32 v25, v17, v21
	v_mul_hi_u32 v26, v18, v22
	v_mul_lo_u32 v22, v18, v22
	v_mul_hi_u32 v27, v18, v21
	v_mul_lo_u32 v21, v18, v21
	v_add_co_u32 v23, vcc_lo, v23, v24
	v_add_co_ci_u32_e32 v24, vcc_lo, 0, v25, vcc_lo
	s_delay_alu instid0(VALU_DEP_2) | instskip(NEXT) | instid1(VALU_DEP_2)
	v_add_co_u32 v22, vcc_lo, v23, v22
	v_add_co_ci_u32_e32 v22, vcc_lo, v24, v26, vcc_lo
	v_add_co_ci_u32_e32 v23, vcc_lo, 0, v27, vcc_lo
	s_delay_alu instid0(VALU_DEP_2) | instskip(NEXT) | instid1(VALU_DEP_2)
	v_add_co_u32 v21, vcc_lo, v22, v21
	v_add_co_ci_u32_e32 v22, vcc_lo, 0, v23, vcc_lo
	s_delay_alu instid0(VALU_DEP_2) | instskip(NEXT) | instid1(VALU_DEP_2)
	v_add_co_u32 v17, vcc_lo, v17, v21
	v_add_co_ci_u32_e32 v18, vcc_lo, v18, v22, vcc_lo
	s_delay_alu instid0(VALU_DEP_2) | instskip(SKIP_1) | instid1(VALU_DEP_3)
	v_mul_hi_u32 v21, s11, v17
	v_mul_lo_u32 v23, s14, v17
	v_mul_lo_u32 v22, s11, v18
	s_delay_alu instid0(VALU_DEP_1) | instskip(SKIP_1) | instid1(VALU_DEP_2)
	v_add_nc_u32_e32 v21, v21, v22
	v_mul_lo_u32 v22, s11, v17
	v_add_nc_u32_e32 v21, v21, v23
	s_delay_alu instid0(VALU_DEP_2) | instskip(NEXT) | instid1(VALU_DEP_2)
	v_mul_hi_u32 v23, v17, v22
	v_mul_lo_u32 v24, v17, v21
	v_mul_hi_u32 v25, v17, v21
	v_mul_hi_u32 v26, v18, v22
	v_mul_lo_u32 v22, v18, v22
	v_mul_hi_u32 v27, v18, v21
	v_mul_lo_u32 v21, v18, v21
	v_add_co_u32 v23, vcc_lo, v23, v24
	v_add_co_ci_u32_e32 v24, vcc_lo, 0, v25, vcc_lo
	s_delay_alu instid0(VALU_DEP_2) | instskip(NEXT) | instid1(VALU_DEP_2)
	v_add_co_u32 v22, vcc_lo, v23, v22
	v_add_co_ci_u32_e32 v22, vcc_lo, v24, v26, vcc_lo
	v_add_co_ci_u32_e32 v23, vcc_lo, 0, v27, vcc_lo
	s_delay_alu instid0(VALU_DEP_2) | instskip(NEXT) | instid1(VALU_DEP_2)
	v_add_co_u32 v21, vcc_lo, v22, v21
	v_add_co_ci_u32_e32 v22, vcc_lo, 0, v23, vcc_lo
	s_delay_alu instid0(VALU_DEP_2) | instskip(NEXT) | instid1(VALU_DEP_2)
	v_add_co_u32 v23, vcc_lo, v17, v21
	v_add_co_ci_u32_e32 v25, vcc_lo, v18, v22, vcc_lo
	s_delay_alu instid0(VALU_DEP_2) | instskip(SKIP_1) | instid1(VALU_DEP_3)
	v_mul_hi_u32 v26, v19, v23
	v_mad_u64_u32 v[21:22], null, v20, v23, 0
	v_mad_u64_u32 v[17:18], null, v19, v25, 0
	;; [unrolled: 1-line block ×3, first 2 shown]
	s_delay_alu instid0(VALU_DEP_2) | instskip(NEXT) | instid1(VALU_DEP_3)
	v_add_co_u32 v17, vcc_lo, v26, v17
	v_add_co_ci_u32_e32 v18, vcc_lo, 0, v18, vcc_lo
	s_delay_alu instid0(VALU_DEP_2) | instskip(NEXT) | instid1(VALU_DEP_2)
	v_add_co_u32 v17, vcc_lo, v17, v21
	v_add_co_ci_u32_e32 v17, vcc_lo, v18, v22, vcc_lo
	v_add_co_ci_u32_e32 v18, vcc_lo, 0, v24, vcc_lo
	s_delay_alu instid0(VALU_DEP_2) | instskip(NEXT) | instid1(VALU_DEP_2)
	v_add_co_u32 v21, vcc_lo, v17, v23
	v_add_co_ci_u32_e32 v22, vcc_lo, 0, v18, vcc_lo
	s_delay_alu instid0(VALU_DEP_2) | instskip(SKIP_1) | instid1(VALU_DEP_3)
	v_mul_lo_u32 v23, s39, v21
	v_mad_u64_u32 v[17:18], null, s38, v21, 0
	v_mul_lo_u32 v24, s38, v22
	s_delay_alu instid0(VALU_DEP_2) | instskip(NEXT) | instid1(VALU_DEP_2)
	v_sub_co_u32 v17, vcc_lo, v19, v17
	v_add3_u32 v18, v18, v24, v23
	s_delay_alu instid0(VALU_DEP_1) | instskip(NEXT) | instid1(VALU_DEP_1)
	v_sub_nc_u32_e32 v23, v20, v18
	v_subrev_co_ci_u32_e64 v19, s11, s39, v23, vcc_lo
	v_add_co_u32 v23, s11, v21, 2
	s_delay_alu instid0(VALU_DEP_1) | instskip(SKIP_3) | instid1(VALU_DEP_3)
	v_add_co_ci_u32_e64 v24, s11, 0, v22, s11
	v_sub_co_u32 v25, s11, v17, s38
	v_sub_co_ci_u32_e32 v18, vcc_lo, v20, v18, vcc_lo
	v_subrev_co_ci_u32_e64 v19, s11, 0, v19, s11
	v_cmp_le_u32_e32 vcc_lo, s38, v25
	s_delay_alu instid0(VALU_DEP_3) | instskip(SKIP_1) | instid1(VALU_DEP_4)
	v_cmp_eq_u32_e64 s11, s39, v18
	v_cndmask_b32_e64 v20, 0, -1, vcc_lo
	v_cmp_le_u32_e32 vcc_lo, s39, v19
	v_cndmask_b32_e64 v25, 0, -1, vcc_lo
	v_cmp_le_u32_e32 vcc_lo, s38, v17
	;; [unrolled: 2-line block ×3, first 2 shown]
	v_cndmask_b32_e64 v26, 0, -1, vcc_lo
	v_cmp_eq_u32_e32 vcc_lo, s39, v19
	s_delay_alu instid0(VALU_DEP_2) | instskip(SKIP_3) | instid1(VALU_DEP_3)
	v_cndmask_b32_e64 v17, v26, v17, s11
	v_cndmask_b32_e32 v19, v25, v20, vcc_lo
	v_add_co_u32 v20, vcc_lo, v21, 1
	v_add_co_ci_u32_e32 v25, vcc_lo, 0, v22, vcc_lo
	v_cmp_ne_u32_e32 vcc_lo, 0, v19
	s_delay_alu instid0(VALU_DEP_2) | instskip(SKIP_1) | instid1(VALU_DEP_2)
	v_dual_cndmask_b32 v18, v25, v24 :: v_dual_cndmask_b32 v19, v20, v23
	v_cmp_ne_u32_e32 vcc_lo, 0, v17
	v_dual_cndmask_b32 v18, v22, v18 :: v_dual_cndmask_b32 v17, v21, v19
                                        ; implicit-def: $vgpr19
.LBB32_55:
	s_and_not1_saveexec_b32 s11, s13
	s_cbranch_execz .LBB32_57
; %bb.56:
	v_cvt_f32_u32_e32 v17, s38
	s_sub_i32 s13, 0, s38
	s_delay_alu instid0(VALU_DEP_1) | instskip(SKIP_2) | instid1(VALU_DEP_1)
	v_rcp_iflag_f32_e32 v17, v17
	s_waitcnt_depctr 0xfff
	v_mul_f32_e32 v17, 0x4f7ffffe, v17
	v_cvt_u32_f32_e32 v17, v17
	s_delay_alu instid0(VALU_DEP_1) | instskip(NEXT) | instid1(VALU_DEP_1)
	v_mul_lo_u32 v18, s13, v17
	v_mul_hi_u32 v18, v17, v18
	s_delay_alu instid0(VALU_DEP_1) | instskip(NEXT) | instid1(VALU_DEP_1)
	v_add_nc_u32_e32 v17, v17, v18
	v_mul_hi_u32 v17, v19, v17
	s_delay_alu instid0(VALU_DEP_1) | instskip(NEXT) | instid1(VALU_DEP_1)
	v_mul_lo_u32 v18, v17, s38
	v_sub_nc_u32_e32 v18, v19, v18
	v_add_nc_u32_e32 v19, 1, v17
	s_delay_alu instid0(VALU_DEP_2) | instskip(SKIP_1) | instid1(VALU_DEP_2)
	v_subrev_nc_u32_e32 v20, s38, v18
	v_cmp_le_u32_e32 vcc_lo, s38, v18
	v_dual_cndmask_b32 v18, v18, v20 :: v_dual_cndmask_b32 v17, v17, v19
	s_delay_alu instid0(VALU_DEP_1) | instskip(NEXT) | instid1(VALU_DEP_2)
	v_cmp_le_u32_e32 vcc_lo, s38, v18
	v_dual_mov_b32 v18, 0 :: v_dual_add_nc_u32 v19, 1, v17
	s_delay_alu instid0(VALU_DEP_1)
	v_cndmask_b32_e32 v17, v17, v19, vcc_lo
.LBB32_57:
	s_or_b32 exec_lo, exec_lo, s11
.LBB32_58:
	s_delay_alu instid0(SALU_CYCLE_1) | instskip(SKIP_2) | instid1(VALU_DEP_2)
	s_or_b32 exec_lo, exec_lo, s12
	v_or_b32_e32 v43, 0x900, v0
	v_dual_mov_b32 v19, v33 :: v_dual_mov_b32 v20, v34
	v_cmp_gt_u32_e64 s11, s49, v43
	s_delay_alu instid0(VALU_DEP_1)
	s_and_saveexec_b32 s13, s11
	s_cbranch_execz .LBB32_64
; %bb.59:
	v_add_co_u32 v21, s12, s36, v43
	s_delay_alu instid0(VALU_DEP_1) | instskip(SKIP_1) | instid1(VALU_DEP_2)
	v_add_co_ci_u32_e64 v22, null, s37, 0, s12
	v_mov_b32_e32 v19, 0
	v_or_b32_e32 v20, s39, v22
	s_delay_alu instid0(VALU_DEP_1) | instskip(SKIP_1) | instid1(SALU_CYCLE_1)
	v_cmp_ne_u64_e32 vcc_lo, 0, v[19:20]
                                        ; implicit-def: $vgpr19_vgpr20
	s_and_saveexec_b32 s12, vcc_lo
	s_xor_b32 s14, exec_lo, s12
	s_cbranch_execz .LBB32_61
; %bb.60:
	v_cvt_f32_u32_e32 v19, s38
	v_cvt_f32_u32_e32 v20, s39
	s_sub_u32 s12, 0, s38
	s_subb_u32 s16, 0, s39
	s_delay_alu instid0(VALU_DEP_1) | instskip(NEXT) | instid1(VALU_DEP_1)
	v_fmamk_f32 v19, v20, 0x4f800000, v19
	v_rcp_f32_e32 v19, v19
	s_waitcnt_depctr 0xfff
	v_mul_f32_e32 v19, 0x5f7ffffc, v19
	s_delay_alu instid0(VALU_DEP_1) | instskip(NEXT) | instid1(VALU_DEP_1)
	v_mul_f32_e32 v20, 0x2f800000, v19
	v_trunc_f32_e32 v20, v20
	s_delay_alu instid0(VALU_DEP_1) | instskip(SKIP_1) | instid1(VALU_DEP_2)
	v_fmamk_f32 v19, v20, 0xcf800000, v19
	v_cvt_u32_f32_e32 v20, v20
	v_cvt_u32_f32_e32 v19, v19
	s_delay_alu instid0(VALU_DEP_2) | instskip(NEXT) | instid1(VALU_DEP_2)
	v_mul_lo_u32 v23, s12, v20
	v_mul_hi_u32 v24, s12, v19
	v_mul_lo_u32 v25, s16, v19
	s_delay_alu instid0(VALU_DEP_2) | instskip(SKIP_1) | instid1(VALU_DEP_2)
	v_add_nc_u32_e32 v23, v24, v23
	v_mul_lo_u32 v24, s12, v19
	v_add_nc_u32_e32 v23, v23, v25
	s_delay_alu instid0(VALU_DEP_2) | instskip(NEXT) | instid1(VALU_DEP_2)
	v_mul_hi_u32 v25, v19, v24
	v_mul_lo_u32 v26, v19, v23
	v_mul_hi_u32 v27, v19, v23
	v_mul_hi_u32 v28, v20, v24
	v_mul_lo_u32 v24, v20, v24
	v_mul_hi_u32 v29, v20, v23
	v_mul_lo_u32 v23, v20, v23
	v_add_co_u32 v25, vcc_lo, v25, v26
	v_add_co_ci_u32_e32 v26, vcc_lo, 0, v27, vcc_lo
	s_delay_alu instid0(VALU_DEP_2) | instskip(NEXT) | instid1(VALU_DEP_2)
	v_add_co_u32 v24, vcc_lo, v25, v24
	v_add_co_ci_u32_e32 v24, vcc_lo, v26, v28, vcc_lo
	v_add_co_ci_u32_e32 v25, vcc_lo, 0, v29, vcc_lo
	s_delay_alu instid0(VALU_DEP_2) | instskip(NEXT) | instid1(VALU_DEP_2)
	v_add_co_u32 v23, vcc_lo, v24, v23
	v_add_co_ci_u32_e32 v24, vcc_lo, 0, v25, vcc_lo
	s_delay_alu instid0(VALU_DEP_2) | instskip(NEXT) | instid1(VALU_DEP_2)
	v_add_co_u32 v19, vcc_lo, v19, v23
	v_add_co_ci_u32_e32 v20, vcc_lo, v20, v24, vcc_lo
	s_delay_alu instid0(VALU_DEP_2) | instskip(SKIP_1) | instid1(VALU_DEP_3)
	v_mul_hi_u32 v23, s12, v19
	v_mul_lo_u32 v25, s16, v19
	v_mul_lo_u32 v24, s12, v20
	s_delay_alu instid0(VALU_DEP_1) | instskip(SKIP_1) | instid1(VALU_DEP_2)
	v_add_nc_u32_e32 v23, v23, v24
	v_mul_lo_u32 v24, s12, v19
	v_add_nc_u32_e32 v23, v23, v25
	s_delay_alu instid0(VALU_DEP_2) | instskip(NEXT) | instid1(VALU_DEP_2)
	v_mul_hi_u32 v25, v19, v24
	v_mul_lo_u32 v26, v19, v23
	v_mul_hi_u32 v27, v19, v23
	v_mul_hi_u32 v28, v20, v24
	v_mul_lo_u32 v24, v20, v24
	v_mul_hi_u32 v29, v20, v23
	v_mul_lo_u32 v23, v20, v23
	v_add_co_u32 v25, vcc_lo, v25, v26
	v_add_co_ci_u32_e32 v26, vcc_lo, 0, v27, vcc_lo
	s_delay_alu instid0(VALU_DEP_2) | instskip(NEXT) | instid1(VALU_DEP_2)
	v_add_co_u32 v24, vcc_lo, v25, v24
	v_add_co_ci_u32_e32 v24, vcc_lo, v26, v28, vcc_lo
	v_add_co_ci_u32_e32 v25, vcc_lo, 0, v29, vcc_lo
	s_delay_alu instid0(VALU_DEP_2) | instskip(NEXT) | instid1(VALU_DEP_2)
	v_add_co_u32 v23, vcc_lo, v24, v23
	v_add_co_ci_u32_e32 v24, vcc_lo, 0, v25, vcc_lo
	s_delay_alu instid0(VALU_DEP_2) | instskip(NEXT) | instid1(VALU_DEP_2)
	v_add_co_u32 v25, vcc_lo, v19, v23
	v_add_co_ci_u32_e32 v27, vcc_lo, v20, v24, vcc_lo
	s_delay_alu instid0(VALU_DEP_2) | instskip(SKIP_1) | instid1(VALU_DEP_3)
	v_mul_hi_u32 v28, v21, v25
	v_mad_u64_u32 v[23:24], null, v22, v25, 0
	v_mad_u64_u32 v[19:20], null, v21, v27, 0
	;; [unrolled: 1-line block ×3, first 2 shown]
	s_delay_alu instid0(VALU_DEP_2) | instskip(NEXT) | instid1(VALU_DEP_3)
	v_add_co_u32 v19, vcc_lo, v28, v19
	v_add_co_ci_u32_e32 v20, vcc_lo, 0, v20, vcc_lo
	s_delay_alu instid0(VALU_DEP_2) | instskip(NEXT) | instid1(VALU_DEP_2)
	v_add_co_u32 v19, vcc_lo, v19, v23
	v_add_co_ci_u32_e32 v19, vcc_lo, v20, v24, vcc_lo
	v_add_co_ci_u32_e32 v20, vcc_lo, 0, v26, vcc_lo
	s_delay_alu instid0(VALU_DEP_2) | instskip(NEXT) | instid1(VALU_DEP_2)
	v_add_co_u32 v23, vcc_lo, v19, v25
	v_add_co_ci_u32_e32 v24, vcc_lo, 0, v20, vcc_lo
	s_delay_alu instid0(VALU_DEP_2) | instskip(SKIP_1) | instid1(VALU_DEP_3)
	v_mul_lo_u32 v25, s39, v23
	v_mad_u64_u32 v[19:20], null, s38, v23, 0
	v_mul_lo_u32 v26, s38, v24
	s_delay_alu instid0(VALU_DEP_2) | instskip(NEXT) | instid1(VALU_DEP_2)
	v_sub_co_u32 v19, vcc_lo, v21, v19
	v_add3_u32 v20, v20, v26, v25
	s_delay_alu instid0(VALU_DEP_1) | instskip(NEXT) | instid1(VALU_DEP_1)
	v_sub_nc_u32_e32 v25, v22, v20
	v_subrev_co_ci_u32_e64 v21, s12, s39, v25, vcc_lo
	v_add_co_u32 v25, s12, v23, 2
	s_delay_alu instid0(VALU_DEP_1) | instskip(SKIP_3) | instid1(VALU_DEP_3)
	v_add_co_ci_u32_e64 v26, s12, 0, v24, s12
	v_sub_co_u32 v27, s12, v19, s38
	v_sub_co_ci_u32_e32 v20, vcc_lo, v22, v20, vcc_lo
	v_subrev_co_ci_u32_e64 v21, s12, 0, v21, s12
	v_cmp_le_u32_e32 vcc_lo, s38, v27
	s_delay_alu instid0(VALU_DEP_3) | instskip(SKIP_1) | instid1(VALU_DEP_4)
	v_cmp_eq_u32_e64 s12, s39, v20
	v_cndmask_b32_e64 v22, 0, -1, vcc_lo
	v_cmp_le_u32_e32 vcc_lo, s39, v21
	v_cndmask_b32_e64 v27, 0, -1, vcc_lo
	v_cmp_le_u32_e32 vcc_lo, s38, v19
	;; [unrolled: 2-line block ×3, first 2 shown]
	v_cndmask_b32_e64 v28, 0, -1, vcc_lo
	v_cmp_eq_u32_e32 vcc_lo, s39, v21
	s_delay_alu instid0(VALU_DEP_2) | instskip(SKIP_3) | instid1(VALU_DEP_3)
	v_cndmask_b32_e64 v19, v28, v19, s12
	v_cndmask_b32_e32 v21, v27, v22, vcc_lo
	v_add_co_u32 v22, vcc_lo, v23, 1
	v_add_co_ci_u32_e32 v27, vcc_lo, 0, v24, vcc_lo
	v_cmp_ne_u32_e32 vcc_lo, 0, v21
	s_delay_alu instid0(VALU_DEP_2) | instskip(SKIP_1) | instid1(VALU_DEP_2)
	v_dual_cndmask_b32 v20, v27, v26 :: v_dual_cndmask_b32 v21, v22, v25
	v_cmp_ne_u32_e32 vcc_lo, 0, v19
	v_dual_cndmask_b32 v20, v24, v20 :: v_dual_cndmask_b32 v19, v23, v21
                                        ; implicit-def: $vgpr21
.LBB32_61:
	s_and_not1_saveexec_b32 s12, s14
	s_cbranch_execz .LBB32_63
; %bb.62:
	v_cvt_f32_u32_e32 v19, s38
	s_sub_i32 s14, 0, s38
	s_delay_alu instid0(VALU_DEP_1) | instskip(SKIP_2) | instid1(VALU_DEP_1)
	v_rcp_iflag_f32_e32 v19, v19
	s_waitcnt_depctr 0xfff
	v_mul_f32_e32 v19, 0x4f7ffffe, v19
	v_cvt_u32_f32_e32 v19, v19
	s_delay_alu instid0(VALU_DEP_1) | instskip(NEXT) | instid1(VALU_DEP_1)
	v_mul_lo_u32 v20, s14, v19
	v_mul_hi_u32 v20, v19, v20
	s_delay_alu instid0(VALU_DEP_1) | instskip(NEXT) | instid1(VALU_DEP_1)
	v_add_nc_u32_e32 v19, v19, v20
	v_mul_hi_u32 v19, v21, v19
	s_delay_alu instid0(VALU_DEP_1) | instskip(NEXT) | instid1(VALU_DEP_1)
	v_mul_lo_u32 v20, v19, s38
	v_sub_nc_u32_e32 v20, v21, v20
	v_add_nc_u32_e32 v21, 1, v19
	s_delay_alu instid0(VALU_DEP_2) | instskip(SKIP_1) | instid1(VALU_DEP_2)
	v_subrev_nc_u32_e32 v22, s38, v20
	v_cmp_le_u32_e32 vcc_lo, s38, v20
	v_dual_cndmask_b32 v20, v20, v22 :: v_dual_cndmask_b32 v19, v19, v21
	s_delay_alu instid0(VALU_DEP_1) | instskip(NEXT) | instid1(VALU_DEP_2)
	v_cmp_le_u32_e32 vcc_lo, s38, v20
	v_dual_mov_b32 v20, 0 :: v_dual_add_nc_u32 v21, 1, v19
	s_delay_alu instid0(VALU_DEP_1)
	v_cndmask_b32_e32 v19, v19, v21, vcc_lo
.LBB32_63:
	s_or_b32 exec_lo, exec_lo, s12
.LBB32_64:
	s_delay_alu instid0(SALU_CYCLE_1) | instskip(SKIP_2) | instid1(VALU_DEP_2)
	s_or_b32 exec_lo, exec_lo, s13
	v_or_b32_e32 v44, 0xa00, v0
	v_dual_mov_b32 v21, v33 :: v_dual_mov_b32 v22, v34
	v_cmp_gt_u32_e64 s12, s49, v44
	s_delay_alu instid0(VALU_DEP_1)
	s_and_saveexec_b32 s14, s12
	s_cbranch_execz .LBB32_70
; %bb.65:
	v_add_co_u32 v23, s13, s36, v44
	s_delay_alu instid0(VALU_DEP_1) | instskip(SKIP_1) | instid1(VALU_DEP_2)
	v_add_co_ci_u32_e64 v24, null, s37, 0, s13
	v_mov_b32_e32 v21, 0
	v_or_b32_e32 v22, s39, v24
	s_delay_alu instid0(VALU_DEP_1) | instskip(SKIP_1) | instid1(SALU_CYCLE_1)
	v_cmp_ne_u64_e32 vcc_lo, 0, v[21:22]
                                        ; implicit-def: $vgpr21_vgpr22
	s_and_saveexec_b32 s13, vcc_lo
	s_xor_b32 s16, exec_lo, s13
	s_cbranch_execz .LBB32_67
; %bb.66:
	v_cvt_f32_u32_e32 v21, s38
	v_cvt_f32_u32_e32 v22, s39
	s_sub_u32 s13, 0, s38
	s_subb_u32 s17, 0, s39
	s_delay_alu instid0(VALU_DEP_1) | instskip(NEXT) | instid1(VALU_DEP_1)
	v_fmamk_f32 v21, v22, 0x4f800000, v21
	v_rcp_f32_e32 v21, v21
	s_waitcnt_depctr 0xfff
	v_mul_f32_e32 v21, 0x5f7ffffc, v21
	s_delay_alu instid0(VALU_DEP_1) | instskip(NEXT) | instid1(VALU_DEP_1)
	v_mul_f32_e32 v22, 0x2f800000, v21
	v_trunc_f32_e32 v22, v22
	s_delay_alu instid0(VALU_DEP_1) | instskip(SKIP_1) | instid1(VALU_DEP_2)
	v_fmamk_f32 v21, v22, 0xcf800000, v21
	v_cvt_u32_f32_e32 v22, v22
	v_cvt_u32_f32_e32 v21, v21
	s_delay_alu instid0(VALU_DEP_2) | instskip(NEXT) | instid1(VALU_DEP_2)
	v_mul_lo_u32 v25, s13, v22
	v_mul_hi_u32 v26, s13, v21
	v_mul_lo_u32 v27, s17, v21
	s_delay_alu instid0(VALU_DEP_2) | instskip(SKIP_1) | instid1(VALU_DEP_2)
	v_add_nc_u32_e32 v25, v26, v25
	v_mul_lo_u32 v26, s13, v21
	v_add_nc_u32_e32 v25, v25, v27
	s_delay_alu instid0(VALU_DEP_2) | instskip(NEXT) | instid1(VALU_DEP_2)
	v_mul_hi_u32 v27, v21, v26
	v_mul_lo_u32 v28, v21, v25
	v_mul_hi_u32 v29, v21, v25
	v_mul_hi_u32 v30, v22, v26
	v_mul_lo_u32 v26, v22, v26
	v_mul_hi_u32 v31, v22, v25
	v_mul_lo_u32 v25, v22, v25
	v_add_co_u32 v27, vcc_lo, v27, v28
	v_add_co_ci_u32_e32 v28, vcc_lo, 0, v29, vcc_lo
	s_delay_alu instid0(VALU_DEP_2) | instskip(NEXT) | instid1(VALU_DEP_2)
	v_add_co_u32 v26, vcc_lo, v27, v26
	v_add_co_ci_u32_e32 v26, vcc_lo, v28, v30, vcc_lo
	v_add_co_ci_u32_e32 v27, vcc_lo, 0, v31, vcc_lo
	s_delay_alu instid0(VALU_DEP_2) | instskip(NEXT) | instid1(VALU_DEP_2)
	v_add_co_u32 v25, vcc_lo, v26, v25
	v_add_co_ci_u32_e32 v26, vcc_lo, 0, v27, vcc_lo
	s_delay_alu instid0(VALU_DEP_2) | instskip(NEXT) | instid1(VALU_DEP_2)
	v_add_co_u32 v21, vcc_lo, v21, v25
	v_add_co_ci_u32_e32 v22, vcc_lo, v22, v26, vcc_lo
	s_delay_alu instid0(VALU_DEP_2) | instskip(SKIP_1) | instid1(VALU_DEP_3)
	v_mul_hi_u32 v25, s13, v21
	v_mul_lo_u32 v27, s17, v21
	v_mul_lo_u32 v26, s13, v22
	s_delay_alu instid0(VALU_DEP_1) | instskip(SKIP_1) | instid1(VALU_DEP_2)
	v_add_nc_u32_e32 v25, v25, v26
	v_mul_lo_u32 v26, s13, v21
	v_add_nc_u32_e32 v25, v25, v27
	s_delay_alu instid0(VALU_DEP_2) | instskip(NEXT) | instid1(VALU_DEP_2)
	v_mul_hi_u32 v27, v21, v26
	v_mul_lo_u32 v28, v21, v25
	v_mul_hi_u32 v29, v21, v25
	v_mul_hi_u32 v30, v22, v26
	v_mul_lo_u32 v26, v22, v26
	v_mul_hi_u32 v31, v22, v25
	v_mul_lo_u32 v25, v22, v25
	v_add_co_u32 v27, vcc_lo, v27, v28
	v_add_co_ci_u32_e32 v28, vcc_lo, 0, v29, vcc_lo
	s_delay_alu instid0(VALU_DEP_2) | instskip(NEXT) | instid1(VALU_DEP_2)
	v_add_co_u32 v26, vcc_lo, v27, v26
	v_add_co_ci_u32_e32 v26, vcc_lo, v28, v30, vcc_lo
	v_add_co_ci_u32_e32 v27, vcc_lo, 0, v31, vcc_lo
	s_delay_alu instid0(VALU_DEP_2) | instskip(NEXT) | instid1(VALU_DEP_2)
	v_add_co_u32 v25, vcc_lo, v26, v25
	v_add_co_ci_u32_e32 v26, vcc_lo, 0, v27, vcc_lo
	s_delay_alu instid0(VALU_DEP_2) | instskip(NEXT) | instid1(VALU_DEP_2)
	v_add_co_u32 v27, vcc_lo, v21, v25
	v_add_co_ci_u32_e32 v29, vcc_lo, v22, v26, vcc_lo
	s_delay_alu instid0(VALU_DEP_2) | instskip(SKIP_1) | instid1(VALU_DEP_3)
	v_mul_hi_u32 v30, v23, v27
	v_mad_u64_u32 v[25:26], null, v24, v27, 0
	v_mad_u64_u32 v[21:22], null, v23, v29, 0
	;; [unrolled: 1-line block ×3, first 2 shown]
	s_delay_alu instid0(VALU_DEP_2) | instskip(NEXT) | instid1(VALU_DEP_3)
	v_add_co_u32 v21, vcc_lo, v30, v21
	v_add_co_ci_u32_e32 v22, vcc_lo, 0, v22, vcc_lo
	s_delay_alu instid0(VALU_DEP_2) | instskip(NEXT) | instid1(VALU_DEP_2)
	v_add_co_u32 v21, vcc_lo, v21, v25
	v_add_co_ci_u32_e32 v21, vcc_lo, v22, v26, vcc_lo
	v_add_co_ci_u32_e32 v22, vcc_lo, 0, v28, vcc_lo
	s_delay_alu instid0(VALU_DEP_2) | instskip(NEXT) | instid1(VALU_DEP_2)
	v_add_co_u32 v25, vcc_lo, v21, v27
	v_add_co_ci_u32_e32 v26, vcc_lo, 0, v22, vcc_lo
	s_delay_alu instid0(VALU_DEP_2) | instskip(SKIP_1) | instid1(VALU_DEP_3)
	v_mul_lo_u32 v27, s39, v25
	v_mad_u64_u32 v[21:22], null, s38, v25, 0
	v_mul_lo_u32 v28, s38, v26
	s_delay_alu instid0(VALU_DEP_2) | instskip(NEXT) | instid1(VALU_DEP_2)
	v_sub_co_u32 v21, vcc_lo, v23, v21
	v_add3_u32 v22, v22, v28, v27
	s_delay_alu instid0(VALU_DEP_1) | instskip(NEXT) | instid1(VALU_DEP_1)
	v_sub_nc_u32_e32 v27, v24, v22
	v_subrev_co_ci_u32_e64 v23, s13, s39, v27, vcc_lo
	v_add_co_u32 v27, s13, v25, 2
	s_delay_alu instid0(VALU_DEP_1) | instskip(SKIP_3) | instid1(VALU_DEP_3)
	v_add_co_ci_u32_e64 v28, s13, 0, v26, s13
	v_sub_co_u32 v29, s13, v21, s38
	v_sub_co_ci_u32_e32 v22, vcc_lo, v24, v22, vcc_lo
	v_subrev_co_ci_u32_e64 v23, s13, 0, v23, s13
	v_cmp_le_u32_e32 vcc_lo, s38, v29
	s_delay_alu instid0(VALU_DEP_3) | instskip(SKIP_1) | instid1(VALU_DEP_4)
	v_cmp_eq_u32_e64 s13, s39, v22
	v_cndmask_b32_e64 v24, 0, -1, vcc_lo
	v_cmp_le_u32_e32 vcc_lo, s39, v23
	v_cndmask_b32_e64 v29, 0, -1, vcc_lo
	v_cmp_le_u32_e32 vcc_lo, s38, v21
	;; [unrolled: 2-line block ×3, first 2 shown]
	v_cndmask_b32_e64 v30, 0, -1, vcc_lo
	v_cmp_eq_u32_e32 vcc_lo, s39, v23
	s_delay_alu instid0(VALU_DEP_2) | instskip(SKIP_3) | instid1(VALU_DEP_3)
	v_cndmask_b32_e64 v21, v30, v21, s13
	v_cndmask_b32_e32 v23, v29, v24, vcc_lo
	v_add_co_u32 v24, vcc_lo, v25, 1
	v_add_co_ci_u32_e32 v29, vcc_lo, 0, v26, vcc_lo
	v_cmp_ne_u32_e32 vcc_lo, 0, v23
	s_delay_alu instid0(VALU_DEP_2) | instskip(SKIP_1) | instid1(VALU_DEP_2)
	v_dual_cndmask_b32 v22, v29, v28 :: v_dual_cndmask_b32 v23, v24, v27
	v_cmp_ne_u32_e32 vcc_lo, 0, v21
	v_dual_cndmask_b32 v22, v26, v22 :: v_dual_cndmask_b32 v21, v25, v23
                                        ; implicit-def: $vgpr23
.LBB32_67:
	s_and_not1_saveexec_b32 s13, s16
	s_cbranch_execz .LBB32_69
; %bb.68:
	v_cvt_f32_u32_e32 v21, s38
	s_sub_i32 s16, 0, s38
	s_delay_alu instid0(VALU_DEP_1) | instskip(SKIP_2) | instid1(VALU_DEP_1)
	v_rcp_iflag_f32_e32 v21, v21
	s_waitcnt_depctr 0xfff
	v_mul_f32_e32 v21, 0x4f7ffffe, v21
	v_cvt_u32_f32_e32 v21, v21
	s_delay_alu instid0(VALU_DEP_1) | instskip(NEXT) | instid1(VALU_DEP_1)
	v_mul_lo_u32 v22, s16, v21
	v_mul_hi_u32 v22, v21, v22
	s_delay_alu instid0(VALU_DEP_1) | instskip(NEXT) | instid1(VALU_DEP_1)
	v_add_nc_u32_e32 v21, v21, v22
	v_mul_hi_u32 v21, v23, v21
	s_delay_alu instid0(VALU_DEP_1) | instskip(NEXT) | instid1(VALU_DEP_1)
	v_mul_lo_u32 v22, v21, s38
	v_sub_nc_u32_e32 v22, v23, v22
	v_add_nc_u32_e32 v23, 1, v21
	s_delay_alu instid0(VALU_DEP_2) | instskip(SKIP_1) | instid1(VALU_DEP_2)
	v_subrev_nc_u32_e32 v24, s38, v22
	v_cmp_le_u32_e32 vcc_lo, s38, v22
	v_dual_cndmask_b32 v22, v22, v24 :: v_dual_cndmask_b32 v21, v21, v23
	s_delay_alu instid0(VALU_DEP_1) | instskip(NEXT) | instid1(VALU_DEP_2)
	v_cmp_le_u32_e32 vcc_lo, s38, v22
	v_dual_mov_b32 v22, 0 :: v_dual_add_nc_u32 v23, 1, v21
	s_delay_alu instid0(VALU_DEP_1)
	v_cndmask_b32_e32 v21, v21, v23, vcc_lo
.LBB32_69:
	s_or_b32 exec_lo, exec_lo, s13
.LBB32_70:
	s_delay_alu instid0(SALU_CYCLE_1) | instskip(SKIP_2) | instid1(VALU_DEP_2)
	s_or_b32 exec_lo, exec_lo, s14
	v_or_b32_e32 v45, 0xb00, v0
	v_dual_mov_b32 v23, v33 :: v_dual_mov_b32 v24, v34
	v_cmp_gt_u32_e64 s13, s49, v45
	s_delay_alu instid0(VALU_DEP_1)
	s_and_saveexec_b32 s16, s13
	s_cbranch_execz .LBB32_76
; %bb.71:
	v_add_co_u32 v25, s14, s36, v45
	s_delay_alu instid0(VALU_DEP_1) | instskip(SKIP_1) | instid1(VALU_DEP_2)
	v_add_co_ci_u32_e64 v26, null, s37, 0, s14
	v_mov_b32_e32 v23, 0
	v_or_b32_e32 v24, s39, v26
	s_delay_alu instid0(VALU_DEP_1) | instskip(SKIP_1) | instid1(SALU_CYCLE_1)
	v_cmp_ne_u64_e32 vcc_lo, 0, v[23:24]
                                        ; implicit-def: $vgpr23_vgpr24
	s_and_saveexec_b32 s14, vcc_lo
	s_xor_b32 s17, exec_lo, s14
	s_cbranch_execz .LBB32_73
; %bb.72:
	v_cvt_f32_u32_e32 v23, s38
	v_cvt_f32_u32_e32 v24, s39
	s_sub_u32 s14, 0, s38
	s_subb_u32 s18, 0, s39
	s_delay_alu instid0(VALU_DEP_1) | instskip(NEXT) | instid1(VALU_DEP_1)
	v_fmamk_f32 v23, v24, 0x4f800000, v23
	v_rcp_f32_e32 v23, v23
	s_waitcnt_depctr 0xfff
	v_mul_f32_e32 v23, 0x5f7ffffc, v23
	s_delay_alu instid0(VALU_DEP_1) | instskip(NEXT) | instid1(VALU_DEP_1)
	v_mul_f32_e32 v24, 0x2f800000, v23
	v_trunc_f32_e32 v24, v24
	s_delay_alu instid0(VALU_DEP_1) | instskip(SKIP_1) | instid1(VALU_DEP_2)
	v_fmamk_f32 v23, v24, 0xcf800000, v23
	v_cvt_u32_f32_e32 v24, v24
	v_cvt_u32_f32_e32 v23, v23
	s_delay_alu instid0(VALU_DEP_2) | instskip(NEXT) | instid1(VALU_DEP_2)
	v_mul_lo_u32 v27, s14, v24
	v_mul_hi_u32 v28, s14, v23
	v_mul_lo_u32 v29, s18, v23
	s_delay_alu instid0(VALU_DEP_2) | instskip(SKIP_1) | instid1(VALU_DEP_2)
	v_add_nc_u32_e32 v27, v28, v27
	v_mul_lo_u32 v28, s14, v23
	v_add_nc_u32_e32 v27, v27, v29
	s_delay_alu instid0(VALU_DEP_2) | instskip(NEXT) | instid1(VALU_DEP_2)
	v_mul_hi_u32 v29, v23, v28
	v_mul_lo_u32 v30, v23, v27
	v_mul_hi_u32 v31, v23, v27
	v_mul_hi_u32 v32, v24, v28
	v_mul_lo_u32 v28, v24, v28
	v_mul_hi_u32 v46, v24, v27
	v_mul_lo_u32 v27, v24, v27
	v_add_co_u32 v29, vcc_lo, v29, v30
	v_add_co_ci_u32_e32 v30, vcc_lo, 0, v31, vcc_lo
	s_delay_alu instid0(VALU_DEP_2) | instskip(NEXT) | instid1(VALU_DEP_2)
	v_add_co_u32 v28, vcc_lo, v29, v28
	v_add_co_ci_u32_e32 v28, vcc_lo, v30, v32, vcc_lo
	v_add_co_ci_u32_e32 v29, vcc_lo, 0, v46, vcc_lo
	s_delay_alu instid0(VALU_DEP_2) | instskip(NEXT) | instid1(VALU_DEP_2)
	v_add_co_u32 v27, vcc_lo, v28, v27
	v_add_co_ci_u32_e32 v28, vcc_lo, 0, v29, vcc_lo
	s_delay_alu instid0(VALU_DEP_2) | instskip(NEXT) | instid1(VALU_DEP_2)
	v_add_co_u32 v23, vcc_lo, v23, v27
	v_add_co_ci_u32_e32 v24, vcc_lo, v24, v28, vcc_lo
	s_delay_alu instid0(VALU_DEP_2) | instskip(SKIP_1) | instid1(VALU_DEP_3)
	v_mul_hi_u32 v27, s14, v23
	v_mul_lo_u32 v29, s18, v23
	v_mul_lo_u32 v28, s14, v24
	s_delay_alu instid0(VALU_DEP_1) | instskip(SKIP_1) | instid1(VALU_DEP_2)
	v_add_nc_u32_e32 v27, v27, v28
	v_mul_lo_u32 v28, s14, v23
	v_add_nc_u32_e32 v27, v27, v29
	s_delay_alu instid0(VALU_DEP_2) | instskip(NEXT) | instid1(VALU_DEP_2)
	v_mul_hi_u32 v29, v23, v28
	v_mul_lo_u32 v30, v23, v27
	v_mul_hi_u32 v31, v23, v27
	v_mul_hi_u32 v32, v24, v28
	v_mul_lo_u32 v28, v24, v28
	v_mul_hi_u32 v46, v24, v27
	v_mul_lo_u32 v27, v24, v27
	v_add_co_u32 v29, vcc_lo, v29, v30
	v_add_co_ci_u32_e32 v30, vcc_lo, 0, v31, vcc_lo
	s_delay_alu instid0(VALU_DEP_2) | instskip(NEXT) | instid1(VALU_DEP_2)
	v_add_co_u32 v28, vcc_lo, v29, v28
	v_add_co_ci_u32_e32 v28, vcc_lo, v30, v32, vcc_lo
	v_add_co_ci_u32_e32 v29, vcc_lo, 0, v46, vcc_lo
	s_delay_alu instid0(VALU_DEP_2) | instskip(NEXT) | instid1(VALU_DEP_2)
	v_add_co_u32 v27, vcc_lo, v28, v27
	v_add_co_ci_u32_e32 v28, vcc_lo, 0, v29, vcc_lo
	s_delay_alu instid0(VALU_DEP_2) | instskip(NEXT) | instid1(VALU_DEP_2)
	v_add_co_u32 v29, vcc_lo, v23, v27
	v_add_co_ci_u32_e32 v31, vcc_lo, v24, v28, vcc_lo
	s_delay_alu instid0(VALU_DEP_2) | instskip(SKIP_1) | instid1(VALU_DEP_3)
	v_mul_hi_u32 v32, v25, v29
	v_mad_u64_u32 v[27:28], null, v26, v29, 0
	v_mad_u64_u32 v[23:24], null, v25, v31, 0
	;; [unrolled: 1-line block ×3, first 2 shown]
	s_delay_alu instid0(VALU_DEP_2) | instskip(NEXT) | instid1(VALU_DEP_3)
	v_add_co_u32 v23, vcc_lo, v32, v23
	v_add_co_ci_u32_e32 v24, vcc_lo, 0, v24, vcc_lo
	s_delay_alu instid0(VALU_DEP_2) | instskip(NEXT) | instid1(VALU_DEP_2)
	v_add_co_u32 v23, vcc_lo, v23, v27
	v_add_co_ci_u32_e32 v23, vcc_lo, v24, v28, vcc_lo
	v_add_co_ci_u32_e32 v24, vcc_lo, 0, v30, vcc_lo
	s_delay_alu instid0(VALU_DEP_2) | instskip(NEXT) | instid1(VALU_DEP_2)
	v_add_co_u32 v27, vcc_lo, v23, v29
	v_add_co_ci_u32_e32 v28, vcc_lo, 0, v24, vcc_lo
	s_delay_alu instid0(VALU_DEP_2) | instskip(SKIP_1) | instid1(VALU_DEP_3)
	v_mul_lo_u32 v29, s39, v27
	v_mad_u64_u32 v[23:24], null, s38, v27, 0
	v_mul_lo_u32 v30, s38, v28
	s_delay_alu instid0(VALU_DEP_2) | instskip(NEXT) | instid1(VALU_DEP_2)
	v_sub_co_u32 v23, vcc_lo, v25, v23
	v_add3_u32 v24, v24, v30, v29
	s_delay_alu instid0(VALU_DEP_1) | instskip(NEXT) | instid1(VALU_DEP_1)
	v_sub_nc_u32_e32 v29, v26, v24
	v_subrev_co_ci_u32_e64 v25, s14, s39, v29, vcc_lo
	v_add_co_u32 v29, s14, v27, 2
	s_delay_alu instid0(VALU_DEP_1) | instskip(SKIP_3) | instid1(VALU_DEP_3)
	v_add_co_ci_u32_e64 v30, s14, 0, v28, s14
	v_sub_co_u32 v31, s14, v23, s38
	v_sub_co_ci_u32_e32 v24, vcc_lo, v26, v24, vcc_lo
	v_subrev_co_ci_u32_e64 v25, s14, 0, v25, s14
	v_cmp_le_u32_e32 vcc_lo, s38, v31
	s_delay_alu instid0(VALU_DEP_3) | instskip(SKIP_1) | instid1(VALU_DEP_4)
	v_cmp_eq_u32_e64 s14, s39, v24
	v_cndmask_b32_e64 v26, 0, -1, vcc_lo
	v_cmp_le_u32_e32 vcc_lo, s39, v25
	v_cndmask_b32_e64 v31, 0, -1, vcc_lo
	v_cmp_le_u32_e32 vcc_lo, s38, v23
	;; [unrolled: 2-line block ×3, first 2 shown]
	v_cndmask_b32_e64 v32, 0, -1, vcc_lo
	v_cmp_eq_u32_e32 vcc_lo, s39, v25
	s_delay_alu instid0(VALU_DEP_2) | instskip(SKIP_3) | instid1(VALU_DEP_3)
	v_cndmask_b32_e64 v23, v32, v23, s14
	v_cndmask_b32_e32 v25, v31, v26, vcc_lo
	v_add_co_u32 v26, vcc_lo, v27, 1
	v_add_co_ci_u32_e32 v31, vcc_lo, 0, v28, vcc_lo
	v_cmp_ne_u32_e32 vcc_lo, 0, v25
	s_delay_alu instid0(VALU_DEP_2) | instskip(SKIP_1) | instid1(VALU_DEP_2)
	v_dual_cndmask_b32 v24, v31, v30 :: v_dual_cndmask_b32 v25, v26, v29
	v_cmp_ne_u32_e32 vcc_lo, 0, v23
	v_dual_cndmask_b32 v24, v28, v24 :: v_dual_cndmask_b32 v23, v27, v25
                                        ; implicit-def: $vgpr25
.LBB32_73:
	s_and_not1_saveexec_b32 s14, s17
	s_cbranch_execz .LBB32_75
; %bb.74:
	v_cvt_f32_u32_e32 v23, s38
	s_sub_i32 s17, 0, s38
	s_delay_alu instid0(VALU_DEP_1) | instskip(SKIP_2) | instid1(VALU_DEP_1)
	v_rcp_iflag_f32_e32 v23, v23
	s_waitcnt_depctr 0xfff
	v_mul_f32_e32 v23, 0x4f7ffffe, v23
	v_cvt_u32_f32_e32 v23, v23
	s_delay_alu instid0(VALU_DEP_1) | instskip(NEXT) | instid1(VALU_DEP_1)
	v_mul_lo_u32 v24, s17, v23
	v_mul_hi_u32 v24, v23, v24
	s_delay_alu instid0(VALU_DEP_1) | instskip(NEXT) | instid1(VALU_DEP_1)
	v_add_nc_u32_e32 v23, v23, v24
	v_mul_hi_u32 v23, v25, v23
	s_delay_alu instid0(VALU_DEP_1) | instskip(NEXT) | instid1(VALU_DEP_1)
	v_mul_lo_u32 v24, v23, s38
	v_sub_nc_u32_e32 v24, v25, v24
	v_add_nc_u32_e32 v25, 1, v23
	s_delay_alu instid0(VALU_DEP_2) | instskip(SKIP_1) | instid1(VALU_DEP_2)
	v_subrev_nc_u32_e32 v26, s38, v24
	v_cmp_le_u32_e32 vcc_lo, s38, v24
	v_dual_cndmask_b32 v24, v24, v26 :: v_dual_cndmask_b32 v23, v23, v25
	s_delay_alu instid0(VALU_DEP_1) | instskip(NEXT) | instid1(VALU_DEP_2)
	v_cmp_le_u32_e32 vcc_lo, s38, v24
	v_dual_mov_b32 v24, 0 :: v_dual_add_nc_u32 v25, 1, v23
	s_delay_alu instid0(VALU_DEP_1)
	v_cndmask_b32_e32 v23, v23, v25, vcc_lo
.LBB32_75:
	s_or_b32 exec_lo, exec_lo, s14
.LBB32_76:
	s_delay_alu instid0(SALU_CYCLE_1) | instskip(SKIP_2) | instid1(VALU_DEP_2)
	s_or_b32 exec_lo, exec_lo, s16
	v_or_b32_e32 v46, 0xc00, v0
	v_dual_mov_b32 v25, v33 :: v_dual_mov_b32 v26, v34
	v_cmp_gt_u32_e64 s14, s49, v46
	s_delay_alu instid0(VALU_DEP_1)
	s_and_saveexec_b32 s17, s14
	s_cbranch_execz .LBB32_82
; %bb.77:
	v_add_co_u32 v27, s16, s36, v46
	s_delay_alu instid0(VALU_DEP_1) | instskip(SKIP_1) | instid1(VALU_DEP_2)
	v_add_co_ci_u32_e64 v28, null, s37, 0, s16
	v_mov_b32_e32 v25, 0
	v_or_b32_e32 v26, s39, v28
	s_delay_alu instid0(VALU_DEP_1) | instskip(SKIP_1) | instid1(SALU_CYCLE_1)
	v_cmp_ne_u64_e32 vcc_lo, 0, v[25:26]
                                        ; implicit-def: $vgpr25_vgpr26
	s_and_saveexec_b32 s16, vcc_lo
	s_xor_b32 s18, exec_lo, s16
	s_cbranch_execz .LBB32_79
; %bb.78:
	v_cvt_f32_u32_e32 v25, s38
	v_cvt_f32_u32_e32 v26, s39
	s_sub_u32 s16, 0, s38
	s_subb_u32 s19, 0, s39
	s_delay_alu instid0(VALU_DEP_1) | instskip(NEXT) | instid1(VALU_DEP_1)
	v_fmamk_f32 v25, v26, 0x4f800000, v25
	v_rcp_f32_e32 v25, v25
	s_waitcnt_depctr 0xfff
	v_mul_f32_e32 v25, 0x5f7ffffc, v25
	s_delay_alu instid0(VALU_DEP_1) | instskip(NEXT) | instid1(VALU_DEP_1)
	v_mul_f32_e32 v26, 0x2f800000, v25
	v_trunc_f32_e32 v26, v26
	s_delay_alu instid0(VALU_DEP_1) | instskip(SKIP_1) | instid1(VALU_DEP_2)
	v_fmamk_f32 v25, v26, 0xcf800000, v25
	v_cvt_u32_f32_e32 v26, v26
	v_cvt_u32_f32_e32 v25, v25
	s_delay_alu instid0(VALU_DEP_2) | instskip(NEXT) | instid1(VALU_DEP_2)
	v_mul_lo_u32 v29, s16, v26
	v_mul_hi_u32 v30, s16, v25
	v_mul_lo_u32 v31, s19, v25
	s_delay_alu instid0(VALU_DEP_2) | instskip(SKIP_1) | instid1(VALU_DEP_2)
	v_add_nc_u32_e32 v29, v30, v29
	v_mul_lo_u32 v30, s16, v25
	v_add_nc_u32_e32 v29, v29, v31
	s_delay_alu instid0(VALU_DEP_2) | instskip(NEXT) | instid1(VALU_DEP_2)
	v_mul_hi_u32 v31, v25, v30
	v_mul_lo_u32 v32, v25, v29
	v_mul_hi_u32 v47, v25, v29
	v_mul_hi_u32 v48, v26, v30
	v_mul_lo_u32 v30, v26, v30
	v_mul_hi_u32 v49, v26, v29
	v_mul_lo_u32 v29, v26, v29
	v_add_co_u32 v31, vcc_lo, v31, v32
	v_add_co_ci_u32_e32 v32, vcc_lo, 0, v47, vcc_lo
	s_delay_alu instid0(VALU_DEP_2) | instskip(NEXT) | instid1(VALU_DEP_2)
	v_add_co_u32 v30, vcc_lo, v31, v30
	v_add_co_ci_u32_e32 v30, vcc_lo, v32, v48, vcc_lo
	v_add_co_ci_u32_e32 v31, vcc_lo, 0, v49, vcc_lo
	s_delay_alu instid0(VALU_DEP_2) | instskip(NEXT) | instid1(VALU_DEP_2)
	v_add_co_u32 v29, vcc_lo, v30, v29
	v_add_co_ci_u32_e32 v30, vcc_lo, 0, v31, vcc_lo
	s_delay_alu instid0(VALU_DEP_2) | instskip(NEXT) | instid1(VALU_DEP_2)
	v_add_co_u32 v25, vcc_lo, v25, v29
	v_add_co_ci_u32_e32 v26, vcc_lo, v26, v30, vcc_lo
	s_delay_alu instid0(VALU_DEP_2) | instskip(SKIP_1) | instid1(VALU_DEP_3)
	v_mul_hi_u32 v29, s16, v25
	v_mul_lo_u32 v31, s19, v25
	v_mul_lo_u32 v30, s16, v26
	s_delay_alu instid0(VALU_DEP_1) | instskip(SKIP_1) | instid1(VALU_DEP_2)
	v_add_nc_u32_e32 v29, v29, v30
	v_mul_lo_u32 v30, s16, v25
	v_add_nc_u32_e32 v29, v29, v31
	s_delay_alu instid0(VALU_DEP_2) | instskip(NEXT) | instid1(VALU_DEP_2)
	v_mul_hi_u32 v31, v25, v30
	v_mul_lo_u32 v32, v25, v29
	v_mul_hi_u32 v47, v25, v29
	v_mul_hi_u32 v48, v26, v30
	v_mul_lo_u32 v30, v26, v30
	v_mul_hi_u32 v49, v26, v29
	v_mul_lo_u32 v29, v26, v29
	v_add_co_u32 v31, vcc_lo, v31, v32
	v_add_co_ci_u32_e32 v32, vcc_lo, 0, v47, vcc_lo
	s_delay_alu instid0(VALU_DEP_2) | instskip(NEXT) | instid1(VALU_DEP_2)
	v_add_co_u32 v30, vcc_lo, v31, v30
	v_add_co_ci_u32_e32 v30, vcc_lo, v32, v48, vcc_lo
	v_add_co_ci_u32_e32 v31, vcc_lo, 0, v49, vcc_lo
	s_delay_alu instid0(VALU_DEP_2) | instskip(NEXT) | instid1(VALU_DEP_2)
	v_add_co_u32 v29, vcc_lo, v30, v29
	v_add_co_ci_u32_e32 v30, vcc_lo, 0, v31, vcc_lo
	s_delay_alu instid0(VALU_DEP_2) | instskip(NEXT) | instid1(VALU_DEP_2)
	v_add_co_u32 v31, vcc_lo, v25, v29
	v_add_co_ci_u32_e32 v47, vcc_lo, v26, v30, vcc_lo
	s_delay_alu instid0(VALU_DEP_2) | instskip(SKIP_1) | instid1(VALU_DEP_3)
	v_mul_hi_u32 v48, v27, v31
	v_mad_u64_u32 v[29:30], null, v28, v31, 0
	v_mad_u64_u32 v[25:26], null, v27, v47, 0
	;; [unrolled: 1-line block ×3, first 2 shown]
	s_delay_alu instid0(VALU_DEP_2) | instskip(NEXT) | instid1(VALU_DEP_3)
	v_add_co_u32 v25, vcc_lo, v48, v25
	v_add_co_ci_u32_e32 v26, vcc_lo, 0, v26, vcc_lo
	s_delay_alu instid0(VALU_DEP_2) | instskip(NEXT) | instid1(VALU_DEP_2)
	v_add_co_u32 v25, vcc_lo, v25, v29
	v_add_co_ci_u32_e32 v25, vcc_lo, v26, v30, vcc_lo
	v_add_co_ci_u32_e32 v26, vcc_lo, 0, v32, vcc_lo
	s_delay_alu instid0(VALU_DEP_2) | instskip(NEXT) | instid1(VALU_DEP_2)
	v_add_co_u32 v29, vcc_lo, v25, v31
	v_add_co_ci_u32_e32 v30, vcc_lo, 0, v26, vcc_lo
	s_delay_alu instid0(VALU_DEP_2) | instskip(SKIP_1) | instid1(VALU_DEP_3)
	v_mul_lo_u32 v31, s39, v29
	v_mad_u64_u32 v[25:26], null, s38, v29, 0
	v_mul_lo_u32 v32, s38, v30
	s_delay_alu instid0(VALU_DEP_2) | instskip(NEXT) | instid1(VALU_DEP_2)
	v_sub_co_u32 v25, vcc_lo, v27, v25
	v_add3_u32 v26, v26, v32, v31
	s_delay_alu instid0(VALU_DEP_1) | instskip(NEXT) | instid1(VALU_DEP_1)
	v_sub_nc_u32_e32 v31, v28, v26
	v_subrev_co_ci_u32_e64 v27, s16, s39, v31, vcc_lo
	v_add_co_u32 v31, s16, v29, 2
	s_delay_alu instid0(VALU_DEP_1) | instskip(SKIP_3) | instid1(VALU_DEP_3)
	v_add_co_ci_u32_e64 v32, s16, 0, v30, s16
	v_sub_co_u32 v47, s16, v25, s38
	v_sub_co_ci_u32_e32 v26, vcc_lo, v28, v26, vcc_lo
	v_subrev_co_ci_u32_e64 v27, s16, 0, v27, s16
	v_cmp_le_u32_e32 vcc_lo, s38, v47
	s_delay_alu instid0(VALU_DEP_3) | instskip(SKIP_1) | instid1(VALU_DEP_4)
	v_cmp_eq_u32_e64 s16, s39, v26
	v_cndmask_b32_e64 v28, 0, -1, vcc_lo
	v_cmp_le_u32_e32 vcc_lo, s39, v27
	v_cndmask_b32_e64 v47, 0, -1, vcc_lo
	v_cmp_le_u32_e32 vcc_lo, s38, v25
	;; [unrolled: 2-line block ×3, first 2 shown]
	v_cndmask_b32_e64 v48, 0, -1, vcc_lo
	v_cmp_eq_u32_e32 vcc_lo, s39, v27
	s_delay_alu instid0(VALU_DEP_2) | instskip(SKIP_3) | instid1(VALU_DEP_3)
	v_cndmask_b32_e64 v25, v48, v25, s16
	v_cndmask_b32_e32 v27, v47, v28, vcc_lo
	v_add_co_u32 v28, vcc_lo, v29, 1
	v_add_co_ci_u32_e32 v47, vcc_lo, 0, v30, vcc_lo
	v_cmp_ne_u32_e32 vcc_lo, 0, v27
	s_delay_alu instid0(VALU_DEP_2) | instskip(SKIP_1) | instid1(VALU_DEP_2)
	v_dual_cndmask_b32 v26, v47, v32 :: v_dual_cndmask_b32 v27, v28, v31
	v_cmp_ne_u32_e32 vcc_lo, 0, v25
	v_dual_cndmask_b32 v26, v30, v26 :: v_dual_cndmask_b32 v25, v29, v27
                                        ; implicit-def: $vgpr27
.LBB32_79:
	s_and_not1_saveexec_b32 s16, s18
	s_cbranch_execz .LBB32_81
; %bb.80:
	v_cvt_f32_u32_e32 v25, s38
	s_sub_i32 s18, 0, s38
	s_delay_alu instid0(VALU_DEP_1) | instskip(SKIP_2) | instid1(VALU_DEP_1)
	v_rcp_iflag_f32_e32 v25, v25
	s_waitcnt_depctr 0xfff
	v_mul_f32_e32 v25, 0x4f7ffffe, v25
	v_cvt_u32_f32_e32 v25, v25
	s_delay_alu instid0(VALU_DEP_1) | instskip(NEXT) | instid1(VALU_DEP_1)
	v_mul_lo_u32 v26, s18, v25
	v_mul_hi_u32 v26, v25, v26
	s_delay_alu instid0(VALU_DEP_1) | instskip(NEXT) | instid1(VALU_DEP_1)
	v_add_nc_u32_e32 v25, v25, v26
	v_mul_hi_u32 v25, v27, v25
	s_delay_alu instid0(VALU_DEP_1) | instskip(NEXT) | instid1(VALU_DEP_1)
	v_mul_lo_u32 v26, v25, s38
	v_sub_nc_u32_e32 v26, v27, v26
	v_add_nc_u32_e32 v27, 1, v25
	s_delay_alu instid0(VALU_DEP_2) | instskip(SKIP_1) | instid1(VALU_DEP_2)
	v_subrev_nc_u32_e32 v28, s38, v26
	v_cmp_le_u32_e32 vcc_lo, s38, v26
	v_dual_cndmask_b32 v26, v26, v28 :: v_dual_cndmask_b32 v25, v25, v27
	s_delay_alu instid0(VALU_DEP_1) | instskip(NEXT) | instid1(VALU_DEP_2)
	v_cmp_le_u32_e32 vcc_lo, s38, v26
	v_dual_mov_b32 v26, 0 :: v_dual_add_nc_u32 v27, 1, v25
	s_delay_alu instid0(VALU_DEP_1)
	v_cndmask_b32_e32 v25, v25, v27, vcc_lo
.LBB32_81:
	s_or_b32 exec_lo, exec_lo, s16
.LBB32_82:
	s_delay_alu instid0(SALU_CYCLE_1) | instskip(SKIP_2) | instid1(VALU_DEP_2)
	s_or_b32 exec_lo, exec_lo, s17
	v_or_b32_e32 v47, 0xd00, v0
	v_dual_mov_b32 v27, v33 :: v_dual_mov_b32 v28, v34
	v_cmp_gt_u32_e64 s16, s49, v47
	s_delay_alu instid0(VALU_DEP_1)
	s_and_saveexec_b32 s18, s16
	s_cbranch_execz .LBB32_88
; %bb.83:
	v_add_co_u32 v29, s17, s36, v47
	s_delay_alu instid0(VALU_DEP_1) | instskip(SKIP_1) | instid1(VALU_DEP_2)
	v_add_co_ci_u32_e64 v30, null, s37, 0, s17
	v_mov_b32_e32 v27, 0
	v_or_b32_e32 v28, s39, v30
	s_delay_alu instid0(VALU_DEP_1) | instskip(SKIP_1) | instid1(SALU_CYCLE_1)
	v_cmp_ne_u64_e32 vcc_lo, 0, v[27:28]
                                        ; implicit-def: $vgpr27_vgpr28
	s_and_saveexec_b32 s17, vcc_lo
	s_xor_b32 s19, exec_lo, s17
	s_cbranch_execz .LBB32_85
; %bb.84:
	v_cvt_f32_u32_e32 v27, s38
	v_cvt_f32_u32_e32 v28, s39
	s_sub_u32 s17, 0, s38
	s_subb_u32 s42, 0, s39
	s_delay_alu instid0(VALU_DEP_1) | instskip(NEXT) | instid1(VALU_DEP_1)
	v_fmamk_f32 v27, v28, 0x4f800000, v27
	v_rcp_f32_e32 v27, v27
	s_waitcnt_depctr 0xfff
	v_mul_f32_e32 v27, 0x5f7ffffc, v27
	s_delay_alu instid0(VALU_DEP_1) | instskip(NEXT) | instid1(VALU_DEP_1)
	v_mul_f32_e32 v28, 0x2f800000, v27
	v_trunc_f32_e32 v28, v28
	s_delay_alu instid0(VALU_DEP_1) | instskip(SKIP_1) | instid1(VALU_DEP_2)
	v_fmamk_f32 v27, v28, 0xcf800000, v27
	v_cvt_u32_f32_e32 v28, v28
	v_cvt_u32_f32_e32 v27, v27
	s_delay_alu instid0(VALU_DEP_2) | instskip(NEXT) | instid1(VALU_DEP_2)
	v_mul_lo_u32 v31, s17, v28
	v_mul_hi_u32 v32, s17, v27
	v_mul_lo_u32 v48, s42, v27
	s_delay_alu instid0(VALU_DEP_2) | instskip(SKIP_1) | instid1(VALU_DEP_2)
	v_add_nc_u32_e32 v31, v32, v31
	v_mul_lo_u32 v32, s17, v27
	v_add_nc_u32_e32 v31, v31, v48
	s_delay_alu instid0(VALU_DEP_2) | instskip(NEXT) | instid1(VALU_DEP_2)
	v_mul_hi_u32 v48, v27, v32
	v_mul_lo_u32 v49, v27, v31
	v_mul_hi_u32 v50, v27, v31
	v_mul_hi_u32 v51, v28, v32
	v_mul_lo_u32 v32, v28, v32
	v_mul_hi_u32 v52, v28, v31
	v_mul_lo_u32 v31, v28, v31
	v_add_co_u32 v48, vcc_lo, v48, v49
	v_add_co_ci_u32_e32 v49, vcc_lo, 0, v50, vcc_lo
	s_delay_alu instid0(VALU_DEP_2) | instskip(NEXT) | instid1(VALU_DEP_2)
	v_add_co_u32 v32, vcc_lo, v48, v32
	v_add_co_ci_u32_e32 v32, vcc_lo, v49, v51, vcc_lo
	v_add_co_ci_u32_e32 v48, vcc_lo, 0, v52, vcc_lo
	s_delay_alu instid0(VALU_DEP_2) | instskip(NEXT) | instid1(VALU_DEP_2)
	v_add_co_u32 v31, vcc_lo, v32, v31
	v_add_co_ci_u32_e32 v32, vcc_lo, 0, v48, vcc_lo
	s_delay_alu instid0(VALU_DEP_2) | instskip(NEXT) | instid1(VALU_DEP_2)
	v_add_co_u32 v27, vcc_lo, v27, v31
	v_add_co_ci_u32_e32 v28, vcc_lo, v28, v32, vcc_lo
	s_delay_alu instid0(VALU_DEP_2) | instskip(SKIP_1) | instid1(VALU_DEP_3)
	v_mul_hi_u32 v31, s17, v27
	v_mul_lo_u32 v48, s42, v27
	v_mul_lo_u32 v32, s17, v28
	s_delay_alu instid0(VALU_DEP_1) | instskip(SKIP_1) | instid1(VALU_DEP_2)
	v_add_nc_u32_e32 v31, v31, v32
	v_mul_lo_u32 v32, s17, v27
	v_add_nc_u32_e32 v31, v31, v48
	s_delay_alu instid0(VALU_DEP_2) | instskip(NEXT) | instid1(VALU_DEP_2)
	v_mul_hi_u32 v48, v27, v32
	v_mul_lo_u32 v49, v27, v31
	v_mul_hi_u32 v50, v27, v31
	v_mul_hi_u32 v51, v28, v32
	v_mul_lo_u32 v32, v28, v32
	v_mul_hi_u32 v52, v28, v31
	v_mul_lo_u32 v31, v28, v31
	v_add_co_u32 v48, vcc_lo, v48, v49
	v_add_co_ci_u32_e32 v49, vcc_lo, 0, v50, vcc_lo
	s_delay_alu instid0(VALU_DEP_2) | instskip(NEXT) | instid1(VALU_DEP_2)
	v_add_co_u32 v32, vcc_lo, v48, v32
	v_add_co_ci_u32_e32 v32, vcc_lo, v49, v51, vcc_lo
	v_add_co_ci_u32_e32 v48, vcc_lo, 0, v52, vcc_lo
	s_delay_alu instid0(VALU_DEP_2) | instskip(NEXT) | instid1(VALU_DEP_2)
	v_add_co_u32 v31, vcc_lo, v32, v31
	v_add_co_ci_u32_e32 v32, vcc_lo, 0, v48, vcc_lo
	s_delay_alu instid0(VALU_DEP_2) | instskip(NEXT) | instid1(VALU_DEP_2)
	v_add_co_u32 v48, vcc_lo, v27, v31
	v_add_co_ci_u32_e32 v50, vcc_lo, v28, v32, vcc_lo
	s_delay_alu instid0(VALU_DEP_2) | instskip(SKIP_1) | instid1(VALU_DEP_3)
	v_mul_hi_u32 v51, v29, v48
	v_mad_u64_u32 v[31:32], null, v30, v48, 0
	v_mad_u64_u32 v[27:28], null, v29, v50, 0
	;; [unrolled: 1-line block ×3, first 2 shown]
	s_delay_alu instid0(VALU_DEP_2) | instskip(NEXT) | instid1(VALU_DEP_3)
	v_add_co_u32 v27, vcc_lo, v51, v27
	v_add_co_ci_u32_e32 v28, vcc_lo, 0, v28, vcc_lo
	s_delay_alu instid0(VALU_DEP_2) | instskip(NEXT) | instid1(VALU_DEP_2)
	v_add_co_u32 v27, vcc_lo, v27, v31
	v_add_co_ci_u32_e32 v27, vcc_lo, v28, v32, vcc_lo
	v_add_co_ci_u32_e32 v28, vcc_lo, 0, v49, vcc_lo
	s_delay_alu instid0(VALU_DEP_2) | instskip(NEXT) | instid1(VALU_DEP_2)
	v_add_co_u32 v31, vcc_lo, v27, v48
	v_add_co_ci_u32_e32 v32, vcc_lo, 0, v28, vcc_lo
	s_delay_alu instid0(VALU_DEP_2) | instskip(SKIP_1) | instid1(VALU_DEP_3)
	v_mul_lo_u32 v48, s39, v31
	v_mad_u64_u32 v[27:28], null, s38, v31, 0
	v_mul_lo_u32 v49, s38, v32
	s_delay_alu instid0(VALU_DEP_2) | instskip(NEXT) | instid1(VALU_DEP_2)
	v_sub_co_u32 v27, vcc_lo, v29, v27
	v_add3_u32 v28, v28, v49, v48
	s_delay_alu instid0(VALU_DEP_1) | instskip(NEXT) | instid1(VALU_DEP_1)
	v_sub_nc_u32_e32 v48, v30, v28
	v_subrev_co_ci_u32_e64 v29, s17, s39, v48, vcc_lo
	v_add_co_u32 v48, s17, v31, 2
	s_delay_alu instid0(VALU_DEP_1) | instskip(SKIP_3) | instid1(VALU_DEP_3)
	v_add_co_ci_u32_e64 v49, s17, 0, v32, s17
	v_sub_co_u32 v50, s17, v27, s38
	v_sub_co_ci_u32_e32 v28, vcc_lo, v30, v28, vcc_lo
	v_subrev_co_ci_u32_e64 v29, s17, 0, v29, s17
	v_cmp_le_u32_e32 vcc_lo, s38, v50
	s_delay_alu instid0(VALU_DEP_3) | instskip(SKIP_1) | instid1(VALU_DEP_4)
	v_cmp_eq_u32_e64 s17, s39, v28
	v_cndmask_b32_e64 v30, 0, -1, vcc_lo
	v_cmp_le_u32_e32 vcc_lo, s39, v29
	v_cndmask_b32_e64 v50, 0, -1, vcc_lo
	v_cmp_le_u32_e32 vcc_lo, s38, v27
	;; [unrolled: 2-line block ×3, first 2 shown]
	v_cndmask_b32_e64 v51, 0, -1, vcc_lo
	v_cmp_eq_u32_e32 vcc_lo, s39, v29
	s_delay_alu instid0(VALU_DEP_2) | instskip(SKIP_3) | instid1(VALU_DEP_3)
	v_cndmask_b32_e64 v27, v51, v27, s17
	v_cndmask_b32_e32 v29, v50, v30, vcc_lo
	v_add_co_u32 v30, vcc_lo, v31, 1
	v_add_co_ci_u32_e32 v50, vcc_lo, 0, v32, vcc_lo
	v_cmp_ne_u32_e32 vcc_lo, 0, v29
	s_delay_alu instid0(VALU_DEP_2) | instskip(NEXT) | instid1(VALU_DEP_4)
	v_cndmask_b32_e32 v28, v50, v49, vcc_lo
	v_cndmask_b32_e32 v29, v30, v48, vcc_lo
	v_cmp_ne_u32_e32 vcc_lo, 0, v27
	s_delay_alu instid0(VALU_DEP_2)
	v_dual_cndmask_b32 v28, v32, v28 :: v_dual_cndmask_b32 v27, v31, v29
                                        ; implicit-def: $vgpr29
.LBB32_85:
	s_and_not1_saveexec_b32 s17, s19
	s_cbranch_execz .LBB32_87
; %bb.86:
	v_cvt_f32_u32_e32 v27, s38
	s_sub_i32 s19, 0, s38
	s_delay_alu instid0(VALU_DEP_1) | instskip(SKIP_2) | instid1(VALU_DEP_1)
	v_rcp_iflag_f32_e32 v27, v27
	s_waitcnt_depctr 0xfff
	v_mul_f32_e32 v27, 0x4f7ffffe, v27
	v_cvt_u32_f32_e32 v27, v27
	s_delay_alu instid0(VALU_DEP_1) | instskip(NEXT) | instid1(VALU_DEP_1)
	v_mul_lo_u32 v28, s19, v27
	v_mul_hi_u32 v28, v27, v28
	s_delay_alu instid0(VALU_DEP_1) | instskip(NEXT) | instid1(VALU_DEP_1)
	v_add_nc_u32_e32 v27, v27, v28
	v_mul_hi_u32 v27, v29, v27
	s_delay_alu instid0(VALU_DEP_1) | instskip(NEXT) | instid1(VALU_DEP_1)
	v_mul_lo_u32 v28, v27, s38
	v_sub_nc_u32_e32 v28, v29, v28
	v_add_nc_u32_e32 v29, 1, v27
	s_delay_alu instid0(VALU_DEP_2) | instskip(SKIP_1) | instid1(VALU_DEP_2)
	v_subrev_nc_u32_e32 v30, s38, v28
	v_cmp_le_u32_e32 vcc_lo, s38, v28
	v_dual_cndmask_b32 v28, v28, v30 :: v_dual_cndmask_b32 v27, v27, v29
	s_delay_alu instid0(VALU_DEP_1) | instskip(NEXT) | instid1(VALU_DEP_2)
	v_cmp_le_u32_e32 vcc_lo, s38, v28
	v_dual_mov_b32 v28, 0 :: v_dual_add_nc_u32 v29, 1, v27
	s_delay_alu instid0(VALU_DEP_1)
	v_cndmask_b32_e32 v27, v27, v29, vcc_lo
.LBB32_87:
	s_or_b32 exec_lo, exec_lo, s17
.LBB32_88:
	s_delay_alu instid0(SALU_CYCLE_1) | instskip(SKIP_2) | instid1(VALU_DEP_2)
	s_or_b32 exec_lo, exec_lo, s18
	v_or_b32_e32 v48, 0xe00, v0
	v_dual_mov_b32 v29, v33 :: v_dual_mov_b32 v30, v34
	v_cmp_gt_u32_e64 s17, s49, v48
	s_delay_alu instid0(VALU_DEP_1)
	s_and_saveexec_b32 s19, s17
	s_cbranch_execz .LBB32_94
; %bb.89:
	v_add_co_u32 v31, s18, s36, v48
	s_delay_alu instid0(VALU_DEP_1) | instskip(SKIP_1) | instid1(VALU_DEP_2)
	v_add_co_ci_u32_e64 v32, null, s37, 0, s18
	v_mov_b32_e32 v29, 0
	v_or_b32_e32 v30, s39, v32
	s_delay_alu instid0(VALU_DEP_1) | instskip(SKIP_1) | instid1(SALU_CYCLE_1)
	v_cmp_ne_u64_e32 vcc_lo, 0, v[29:30]
                                        ; implicit-def: $vgpr29_vgpr30
	s_and_saveexec_b32 s18, vcc_lo
	s_xor_b32 s42, exec_lo, s18
	s_cbranch_execz .LBB32_91
; %bb.90:
	v_cvt_f32_u32_e32 v29, s38
	v_cvt_f32_u32_e32 v30, s39
	s_sub_u32 s18, 0, s38
	s_subb_u32 s43, 0, s39
	s_delay_alu instid0(VALU_DEP_1) | instskip(NEXT) | instid1(VALU_DEP_1)
	v_fmamk_f32 v29, v30, 0x4f800000, v29
	v_rcp_f32_e32 v29, v29
	s_waitcnt_depctr 0xfff
	v_mul_f32_e32 v29, 0x5f7ffffc, v29
	s_delay_alu instid0(VALU_DEP_1) | instskip(NEXT) | instid1(VALU_DEP_1)
	v_mul_f32_e32 v30, 0x2f800000, v29
	v_trunc_f32_e32 v30, v30
	s_delay_alu instid0(VALU_DEP_1) | instskip(SKIP_1) | instid1(VALU_DEP_2)
	v_fmamk_f32 v29, v30, 0xcf800000, v29
	v_cvt_u32_f32_e32 v30, v30
	v_cvt_u32_f32_e32 v29, v29
	s_delay_alu instid0(VALU_DEP_2) | instskip(NEXT) | instid1(VALU_DEP_2)
	v_mul_lo_u32 v49, s18, v30
	v_mul_hi_u32 v50, s18, v29
	v_mul_lo_u32 v51, s43, v29
	s_delay_alu instid0(VALU_DEP_2) | instskip(SKIP_1) | instid1(VALU_DEP_2)
	v_add_nc_u32_e32 v49, v50, v49
	v_mul_lo_u32 v50, s18, v29
	v_add_nc_u32_e32 v49, v49, v51
	s_delay_alu instid0(VALU_DEP_2) | instskip(NEXT) | instid1(VALU_DEP_2)
	v_mul_hi_u32 v51, v29, v50
	v_mul_lo_u32 v52, v29, v49
	v_mul_hi_u32 v53, v29, v49
	v_mul_hi_u32 v54, v30, v50
	v_mul_lo_u32 v50, v30, v50
	v_mul_hi_u32 v55, v30, v49
	v_mul_lo_u32 v49, v30, v49
	v_add_co_u32 v51, vcc_lo, v51, v52
	v_add_co_ci_u32_e32 v52, vcc_lo, 0, v53, vcc_lo
	s_delay_alu instid0(VALU_DEP_2) | instskip(NEXT) | instid1(VALU_DEP_2)
	v_add_co_u32 v50, vcc_lo, v51, v50
	v_add_co_ci_u32_e32 v50, vcc_lo, v52, v54, vcc_lo
	v_add_co_ci_u32_e32 v51, vcc_lo, 0, v55, vcc_lo
	s_delay_alu instid0(VALU_DEP_2) | instskip(NEXT) | instid1(VALU_DEP_2)
	v_add_co_u32 v49, vcc_lo, v50, v49
	v_add_co_ci_u32_e32 v50, vcc_lo, 0, v51, vcc_lo
	s_delay_alu instid0(VALU_DEP_2) | instskip(NEXT) | instid1(VALU_DEP_2)
	v_add_co_u32 v29, vcc_lo, v29, v49
	v_add_co_ci_u32_e32 v30, vcc_lo, v30, v50, vcc_lo
	s_delay_alu instid0(VALU_DEP_2) | instskip(SKIP_1) | instid1(VALU_DEP_3)
	v_mul_hi_u32 v49, s18, v29
	v_mul_lo_u32 v51, s43, v29
	v_mul_lo_u32 v50, s18, v30
	s_delay_alu instid0(VALU_DEP_1) | instskip(SKIP_1) | instid1(VALU_DEP_2)
	v_add_nc_u32_e32 v49, v49, v50
	v_mul_lo_u32 v50, s18, v29
	v_add_nc_u32_e32 v49, v49, v51
	s_delay_alu instid0(VALU_DEP_2) | instskip(NEXT) | instid1(VALU_DEP_2)
	v_mul_hi_u32 v51, v29, v50
	v_mul_lo_u32 v52, v29, v49
	v_mul_hi_u32 v53, v29, v49
	v_mul_hi_u32 v54, v30, v50
	v_mul_lo_u32 v50, v30, v50
	v_mul_hi_u32 v55, v30, v49
	v_mul_lo_u32 v49, v30, v49
	v_add_co_u32 v51, vcc_lo, v51, v52
	v_add_co_ci_u32_e32 v52, vcc_lo, 0, v53, vcc_lo
	s_delay_alu instid0(VALU_DEP_2) | instskip(NEXT) | instid1(VALU_DEP_2)
	v_add_co_u32 v50, vcc_lo, v51, v50
	v_add_co_ci_u32_e32 v50, vcc_lo, v52, v54, vcc_lo
	v_add_co_ci_u32_e32 v51, vcc_lo, 0, v55, vcc_lo
	s_delay_alu instid0(VALU_DEP_2) | instskip(NEXT) | instid1(VALU_DEP_2)
	v_add_co_u32 v49, vcc_lo, v50, v49
	v_add_co_ci_u32_e32 v50, vcc_lo, 0, v51, vcc_lo
	s_delay_alu instid0(VALU_DEP_2) | instskip(NEXT) | instid1(VALU_DEP_2)
	v_add_co_u32 v51, vcc_lo, v29, v49
	v_add_co_ci_u32_e32 v53, vcc_lo, v30, v50, vcc_lo
	s_delay_alu instid0(VALU_DEP_2) | instskip(SKIP_1) | instid1(VALU_DEP_3)
	v_mul_hi_u32 v54, v31, v51
	v_mad_u64_u32 v[49:50], null, v32, v51, 0
	v_mad_u64_u32 v[29:30], null, v31, v53, 0
	;; [unrolled: 1-line block ×3, first 2 shown]
	s_delay_alu instid0(VALU_DEP_2) | instskip(NEXT) | instid1(VALU_DEP_3)
	v_add_co_u32 v29, vcc_lo, v54, v29
	v_add_co_ci_u32_e32 v30, vcc_lo, 0, v30, vcc_lo
	s_delay_alu instid0(VALU_DEP_2) | instskip(NEXT) | instid1(VALU_DEP_2)
	v_add_co_u32 v29, vcc_lo, v29, v49
	v_add_co_ci_u32_e32 v29, vcc_lo, v30, v50, vcc_lo
	v_add_co_ci_u32_e32 v30, vcc_lo, 0, v52, vcc_lo
	s_delay_alu instid0(VALU_DEP_2) | instskip(NEXT) | instid1(VALU_DEP_2)
	v_add_co_u32 v49, vcc_lo, v29, v51
	v_add_co_ci_u32_e32 v50, vcc_lo, 0, v30, vcc_lo
	s_delay_alu instid0(VALU_DEP_2) | instskip(SKIP_1) | instid1(VALU_DEP_3)
	v_mul_lo_u32 v51, s39, v49
	v_mad_u64_u32 v[29:30], null, s38, v49, 0
	v_mul_lo_u32 v52, s38, v50
	s_delay_alu instid0(VALU_DEP_2) | instskip(NEXT) | instid1(VALU_DEP_2)
	v_sub_co_u32 v29, vcc_lo, v31, v29
	v_add3_u32 v30, v30, v52, v51
	s_delay_alu instid0(VALU_DEP_1) | instskip(NEXT) | instid1(VALU_DEP_1)
	v_sub_nc_u32_e32 v51, v32, v30
	v_subrev_co_ci_u32_e64 v31, s18, s39, v51, vcc_lo
	v_add_co_u32 v51, s18, v49, 2
	s_delay_alu instid0(VALU_DEP_1) | instskip(SKIP_3) | instid1(VALU_DEP_3)
	v_add_co_ci_u32_e64 v52, s18, 0, v50, s18
	v_sub_co_u32 v53, s18, v29, s38
	v_sub_co_ci_u32_e32 v30, vcc_lo, v32, v30, vcc_lo
	v_subrev_co_ci_u32_e64 v31, s18, 0, v31, s18
	v_cmp_le_u32_e32 vcc_lo, s38, v53
	s_delay_alu instid0(VALU_DEP_3) | instskip(SKIP_1) | instid1(VALU_DEP_4)
	v_cmp_eq_u32_e64 s18, s39, v30
	v_cndmask_b32_e64 v32, 0, -1, vcc_lo
	v_cmp_le_u32_e32 vcc_lo, s39, v31
	v_cndmask_b32_e64 v53, 0, -1, vcc_lo
	v_cmp_le_u32_e32 vcc_lo, s38, v29
	;; [unrolled: 2-line block ×3, first 2 shown]
	v_cndmask_b32_e64 v54, 0, -1, vcc_lo
	v_cmp_eq_u32_e32 vcc_lo, s39, v31
	s_delay_alu instid0(VALU_DEP_2) | instskip(SKIP_3) | instid1(VALU_DEP_3)
	v_cndmask_b32_e64 v29, v54, v29, s18
	v_cndmask_b32_e32 v31, v53, v32, vcc_lo
	v_add_co_u32 v32, vcc_lo, v49, 1
	v_add_co_ci_u32_e32 v53, vcc_lo, 0, v50, vcc_lo
	v_cmp_ne_u32_e32 vcc_lo, 0, v31
	s_delay_alu instid0(VALU_DEP_2) | instskip(SKIP_1) | instid1(VALU_DEP_2)
	v_dual_cndmask_b32 v30, v53, v52 :: v_dual_cndmask_b32 v31, v32, v51
	v_cmp_ne_u32_e32 vcc_lo, 0, v29
	v_dual_cndmask_b32 v30, v50, v30 :: v_dual_cndmask_b32 v29, v49, v31
                                        ; implicit-def: $vgpr31
.LBB32_91:
	s_and_not1_saveexec_b32 s18, s42
	s_cbranch_execz .LBB32_93
; %bb.92:
	v_cvt_f32_u32_e32 v29, s38
	s_sub_i32 s42, 0, s38
	s_delay_alu instid0(VALU_DEP_1) | instskip(SKIP_2) | instid1(VALU_DEP_1)
	v_rcp_iflag_f32_e32 v29, v29
	s_waitcnt_depctr 0xfff
	v_mul_f32_e32 v29, 0x4f7ffffe, v29
	v_cvt_u32_f32_e32 v29, v29
	s_delay_alu instid0(VALU_DEP_1) | instskip(NEXT) | instid1(VALU_DEP_1)
	v_mul_lo_u32 v30, s42, v29
	v_mul_hi_u32 v30, v29, v30
	s_delay_alu instid0(VALU_DEP_1) | instskip(NEXT) | instid1(VALU_DEP_1)
	v_add_nc_u32_e32 v29, v29, v30
	v_mul_hi_u32 v29, v31, v29
	s_delay_alu instid0(VALU_DEP_1) | instskip(NEXT) | instid1(VALU_DEP_1)
	v_mul_lo_u32 v30, v29, s38
	v_sub_nc_u32_e32 v30, v31, v30
	v_add_nc_u32_e32 v31, 1, v29
	s_delay_alu instid0(VALU_DEP_2) | instskip(SKIP_1) | instid1(VALU_DEP_2)
	v_subrev_nc_u32_e32 v32, s38, v30
	v_cmp_le_u32_e32 vcc_lo, s38, v30
	v_dual_cndmask_b32 v30, v30, v32 :: v_dual_cndmask_b32 v29, v29, v31
	s_delay_alu instid0(VALU_DEP_1) | instskip(NEXT) | instid1(VALU_DEP_2)
	v_cmp_le_u32_e32 vcc_lo, s38, v30
	v_dual_mov_b32 v30, 0 :: v_dual_add_nc_u32 v31, 1, v29
	s_delay_alu instid0(VALU_DEP_1)
	v_cndmask_b32_e32 v29, v29, v31, vcc_lo
.LBB32_93:
	s_or_b32 exec_lo, exec_lo, s18
.LBB32_94:
	s_delay_alu instid0(SALU_CYCLE_1) | instskip(SKIP_2) | instid1(VALU_DEP_2)
	s_or_b32 exec_lo, exec_lo, s19
	v_or_b32_e32 v49, 0xf00, v0
	v_dual_mov_b32 v31, v33 :: v_dual_mov_b32 v32, v34
	v_cmp_gt_u32_e64 s18, s49, v49
	s_delay_alu instid0(VALU_DEP_1)
	s_and_saveexec_b32 s42, s18
	s_cbranch_execz .LBB32_100
; %bb.95:
	v_add_co_u32 v50, s19, s36, v49
	s_delay_alu instid0(VALU_DEP_1) | instskip(SKIP_1) | instid1(VALU_DEP_2)
	v_add_co_ci_u32_e64 v51, null, s37, 0, s19
	v_mov_b32_e32 v31, 0
	v_or_b32_e32 v32, s39, v51
	s_delay_alu instid0(VALU_DEP_1) | instskip(SKIP_1) | instid1(SALU_CYCLE_1)
	v_cmp_ne_u64_e32 vcc_lo, 0, v[31:32]
                                        ; implicit-def: $vgpr31_vgpr32
	s_and_saveexec_b32 s19, vcc_lo
	s_xor_b32 s43, exec_lo, s19
	s_cbranch_execz .LBB32_97
; %bb.96:
	v_cvt_f32_u32_e32 v31, s38
	v_cvt_f32_u32_e32 v32, s39
	s_sub_u32 s19, 0, s38
	s_subb_u32 s46, 0, s39
	s_delay_alu instid0(VALU_DEP_1) | instskip(NEXT) | instid1(VALU_DEP_1)
	v_fmamk_f32 v31, v32, 0x4f800000, v31
	v_rcp_f32_e32 v31, v31
	s_waitcnt_depctr 0xfff
	v_mul_f32_e32 v31, 0x5f7ffffc, v31
	s_delay_alu instid0(VALU_DEP_1) | instskip(NEXT) | instid1(VALU_DEP_1)
	v_mul_f32_e32 v32, 0x2f800000, v31
	v_trunc_f32_e32 v32, v32
	s_delay_alu instid0(VALU_DEP_1) | instskip(SKIP_1) | instid1(VALU_DEP_2)
	v_fmamk_f32 v31, v32, 0xcf800000, v31
	v_cvt_u32_f32_e32 v32, v32
	v_cvt_u32_f32_e32 v31, v31
	s_delay_alu instid0(VALU_DEP_2) | instskip(NEXT) | instid1(VALU_DEP_2)
	v_mul_lo_u32 v52, s19, v32
	v_mul_hi_u32 v53, s19, v31
	v_mul_lo_u32 v54, s46, v31
	s_delay_alu instid0(VALU_DEP_2) | instskip(SKIP_1) | instid1(VALU_DEP_2)
	v_add_nc_u32_e32 v52, v53, v52
	v_mul_lo_u32 v53, s19, v31
	v_add_nc_u32_e32 v52, v52, v54
	s_delay_alu instid0(VALU_DEP_2) | instskip(NEXT) | instid1(VALU_DEP_2)
	v_mul_hi_u32 v54, v31, v53
	v_mul_lo_u32 v55, v31, v52
	v_mul_hi_u32 v56, v31, v52
	v_mul_hi_u32 v57, v32, v53
	v_mul_lo_u32 v53, v32, v53
	v_mul_hi_u32 v58, v32, v52
	v_mul_lo_u32 v52, v32, v52
	v_add_co_u32 v54, vcc_lo, v54, v55
	v_add_co_ci_u32_e32 v55, vcc_lo, 0, v56, vcc_lo
	s_delay_alu instid0(VALU_DEP_2) | instskip(NEXT) | instid1(VALU_DEP_2)
	v_add_co_u32 v53, vcc_lo, v54, v53
	v_add_co_ci_u32_e32 v53, vcc_lo, v55, v57, vcc_lo
	v_add_co_ci_u32_e32 v54, vcc_lo, 0, v58, vcc_lo
	s_delay_alu instid0(VALU_DEP_2) | instskip(NEXT) | instid1(VALU_DEP_2)
	v_add_co_u32 v52, vcc_lo, v53, v52
	v_add_co_ci_u32_e32 v53, vcc_lo, 0, v54, vcc_lo
	s_delay_alu instid0(VALU_DEP_2) | instskip(NEXT) | instid1(VALU_DEP_2)
	v_add_co_u32 v31, vcc_lo, v31, v52
	v_add_co_ci_u32_e32 v32, vcc_lo, v32, v53, vcc_lo
	s_delay_alu instid0(VALU_DEP_2) | instskip(SKIP_1) | instid1(VALU_DEP_3)
	v_mul_hi_u32 v52, s19, v31
	v_mul_lo_u32 v54, s46, v31
	v_mul_lo_u32 v53, s19, v32
	s_delay_alu instid0(VALU_DEP_1) | instskip(SKIP_1) | instid1(VALU_DEP_2)
	v_add_nc_u32_e32 v52, v52, v53
	v_mul_lo_u32 v53, s19, v31
	v_add_nc_u32_e32 v52, v52, v54
	s_delay_alu instid0(VALU_DEP_2) | instskip(NEXT) | instid1(VALU_DEP_2)
	v_mul_hi_u32 v54, v31, v53
	v_mul_lo_u32 v55, v31, v52
	v_mul_hi_u32 v56, v31, v52
	v_mul_hi_u32 v57, v32, v53
	v_mul_lo_u32 v53, v32, v53
	v_mul_hi_u32 v58, v32, v52
	v_mul_lo_u32 v52, v32, v52
	v_add_co_u32 v54, vcc_lo, v54, v55
	v_add_co_ci_u32_e32 v55, vcc_lo, 0, v56, vcc_lo
	s_delay_alu instid0(VALU_DEP_2) | instskip(NEXT) | instid1(VALU_DEP_2)
	v_add_co_u32 v53, vcc_lo, v54, v53
	v_add_co_ci_u32_e32 v53, vcc_lo, v55, v57, vcc_lo
	v_add_co_ci_u32_e32 v54, vcc_lo, 0, v58, vcc_lo
	s_delay_alu instid0(VALU_DEP_2) | instskip(NEXT) | instid1(VALU_DEP_2)
	v_add_co_u32 v52, vcc_lo, v53, v52
	v_add_co_ci_u32_e32 v53, vcc_lo, 0, v54, vcc_lo
	s_delay_alu instid0(VALU_DEP_2) | instskip(NEXT) | instid1(VALU_DEP_2)
	v_add_co_u32 v54, vcc_lo, v31, v52
	v_add_co_ci_u32_e32 v56, vcc_lo, v32, v53, vcc_lo
	s_delay_alu instid0(VALU_DEP_2) | instskip(SKIP_1) | instid1(VALU_DEP_3)
	v_mul_hi_u32 v57, v50, v54
	v_mad_u64_u32 v[52:53], null, v51, v54, 0
	v_mad_u64_u32 v[31:32], null, v50, v56, 0
	;; [unrolled: 1-line block ×3, first 2 shown]
	s_delay_alu instid0(VALU_DEP_2) | instskip(NEXT) | instid1(VALU_DEP_3)
	v_add_co_u32 v31, vcc_lo, v57, v31
	v_add_co_ci_u32_e32 v32, vcc_lo, 0, v32, vcc_lo
	s_delay_alu instid0(VALU_DEP_2) | instskip(NEXT) | instid1(VALU_DEP_2)
	v_add_co_u32 v31, vcc_lo, v31, v52
	v_add_co_ci_u32_e32 v31, vcc_lo, v32, v53, vcc_lo
	v_add_co_ci_u32_e32 v32, vcc_lo, 0, v55, vcc_lo
	s_delay_alu instid0(VALU_DEP_2) | instskip(NEXT) | instid1(VALU_DEP_2)
	v_add_co_u32 v52, vcc_lo, v31, v54
	v_add_co_ci_u32_e32 v53, vcc_lo, 0, v32, vcc_lo
	s_delay_alu instid0(VALU_DEP_2) | instskip(SKIP_1) | instid1(VALU_DEP_3)
	v_mul_lo_u32 v54, s39, v52
	v_mad_u64_u32 v[31:32], null, s38, v52, 0
	v_mul_lo_u32 v55, s38, v53
	s_delay_alu instid0(VALU_DEP_2) | instskip(NEXT) | instid1(VALU_DEP_2)
	v_sub_co_u32 v31, vcc_lo, v50, v31
	v_add3_u32 v32, v32, v55, v54
	s_delay_alu instid0(VALU_DEP_1) | instskip(NEXT) | instid1(VALU_DEP_1)
	v_sub_nc_u32_e32 v54, v51, v32
	v_subrev_co_ci_u32_e64 v50, s19, s39, v54, vcc_lo
	v_add_co_u32 v54, s19, v52, 2
	s_delay_alu instid0(VALU_DEP_1) | instskip(SKIP_3) | instid1(VALU_DEP_3)
	v_add_co_ci_u32_e64 v55, s19, 0, v53, s19
	v_sub_co_u32 v56, s19, v31, s38
	v_sub_co_ci_u32_e32 v32, vcc_lo, v51, v32, vcc_lo
	v_subrev_co_ci_u32_e64 v50, s19, 0, v50, s19
	v_cmp_le_u32_e32 vcc_lo, s38, v56
	s_delay_alu instid0(VALU_DEP_3) | instskip(SKIP_1) | instid1(VALU_DEP_4)
	v_cmp_eq_u32_e64 s19, s39, v32
	v_cndmask_b32_e64 v51, 0, -1, vcc_lo
	v_cmp_le_u32_e32 vcc_lo, s39, v50
	v_cndmask_b32_e64 v56, 0, -1, vcc_lo
	v_cmp_le_u32_e32 vcc_lo, s38, v31
	;; [unrolled: 2-line block ×3, first 2 shown]
	v_cndmask_b32_e64 v57, 0, -1, vcc_lo
	v_cmp_eq_u32_e32 vcc_lo, s39, v50
	s_delay_alu instid0(VALU_DEP_2) | instskip(SKIP_3) | instid1(VALU_DEP_3)
	v_cndmask_b32_e64 v31, v57, v31, s19
	v_cndmask_b32_e32 v50, v56, v51, vcc_lo
	v_add_co_u32 v51, vcc_lo, v52, 1
	v_add_co_ci_u32_e32 v56, vcc_lo, 0, v53, vcc_lo
	v_cmp_ne_u32_e32 vcc_lo, 0, v50
	s_delay_alu instid0(VALU_DEP_3) | instskip(NEXT) | instid1(VALU_DEP_3)
	v_cndmask_b32_e32 v50, v51, v54, vcc_lo
	v_cndmask_b32_e32 v32, v56, v55, vcc_lo
	v_cmp_ne_u32_e32 vcc_lo, 0, v31
	s_delay_alu instid0(VALU_DEP_2)
	v_dual_cndmask_b32 v32, v53, v32 :: v_dual_cndmask_b32 v31, v52, v50
                                        ; implicit-def: $vgpr50
.LBB32_97:
	s_and_not1_saveexec_b32 s19, s43
	s_cbranch_execz .LBB32_99
; %bb.98:
	v_cvt_f32_u32_e32 v31, s38
	s_sub_i32 s43, 0, s38
	s_delay_alu instid0(VALU_DEP_1) | instskip(SKIP_2) | instid1(VALU_DEP_1)
	v_rcp_iflag_f32_e32 v31, v31
	s_waitcnt_depctr 0xfff
	v_mul_f32_e32 v31, 0x4f7ffffe, v31
	v_cvt_u32_f32_e32 v31, v31
	s_delay_alu instid0(VALU_DEP_1) | instskip(NEXT) | instid1(VALU_DEP_1)
	v_mul_lo_u32 v32, s43, v31
	v_mul_hi_u32 v32, v31, v32
	s_delay_alu instid0(VALU_DEP_1) | instskip(NEXT) | instid1(VALU_DEP_1)
	v_add_nc_u32_e32 v31, v31, v32
	v_mul_hi_u32 v31, v50, v31
	s_delay_alu instid0(VALU_DEP_1) | instskip(NEXT) | instid1(VALU_DEP_1)
	v_mul_lo_u32 v32, v31, s38
	v_sub_nc_u32_e32 v32, v50, v32
	v_add_nc_u32_e32 v50, 1, v31
	s_delay_alu instid0(VALU_DEP_2) | instskip(SKIP_1) | instid1(VALU_DEP_2)
	v_subrev_nc_u32_e32 v51, s38, v32
	v_cmp_le_u32_e32 vcc_lo, s38, v32
	v_dual_cndmask_b32 v32, v32, v51 :: v_dual_cndmask_b32 v31, v31, v50
	s_delay_alu instid0(VALU_DEP_1) | instskip(NEXT) | instid1(VALU_DEP_2)
	v_cmp_le_u32_e32 vcc_lo, s38, v32
	v_add_nc_u32_e32 v50, 1, v31
	s_delay_alu instid0(VALU_DEP_1)
	v_dual_mov_b32 v32, 0 :: v_dual_cndmask_b32 v31, v31, v50
.LBB32_99:
	s_or_b32 exec_lo, exec_lo, s19
.LBB32_100:
	s_delay_alu instid0(SALU_CYCLE_1)
	s_or_b32 exec_lo, exec_lo, s42
	v_lshrrev_b32_e32 v50, 5, v0
	v_lshrrev_b32_e32 v35, 5, v35
	;; [unrolled: 1-line block ×5, first 2 shown]
	v_add_nc_u32_e32 v37, v50, v0
	v_add_nc_u32_e32 v35, v35, v0
	v_lshrrev_b32_e32 v50, 5, v36
	v_lshrrev_b32_e32 v55, 5, v40
	v_add_nc_u32_e32 v53, v51, v0
	v_lshlrev_b32_e32 v56, 3, v37
	v_add_nc_u32_e32 v52, v39, v0
	v_lshlrev_b32_e32 v57, 3, v35
	v_add_nc_u32_e32 v39, v50, v0
	v_add_nc_u32_e32 v51, v54, v0
	ds_store_b64 v56, v[1:2]
	ds_store_b64 v57, v[3:4] offset:2048
	v_lshlrev_b32_e32 v1, 3, v53
	v_lshlrev_b32_e32 v2, 3, v52
	v_add_nc_u32_e32 v50, v55, v0
	v_lshlrev_b32_e32 v3, 3, v39
	v_lshrrev_b32_e32 v4, 5, v43
	ds_store_b64 v1, v[5:6] offset:4096
	v_lshlrev_b32_e32 v1, 3, v51
	ds_store_b64 v2, v[7:8] offset:6144
	ds_store_b64 v3, v[9:10] offset:8192
	v_lshlrev_b32_e32 v2, 3, v50
	v_lshrrev_b32_e32 v3, 5, v41
	v_add_nc_u32_e32 v55, v4, v0
	ds_store_b64 v1, v[11:12] offset:10240
	v_lshrrev_b32_e32 v1, 5, v42
	ds_store_b64 v2, v[13:14] offset:12288
	v_lshrrev_b32_e32 v2, 5, v44
	v_add_nc_u32_e32 v54, v3, v0
	v_lshlrev_b32_e32 v4, 3, v55
	v_add_nc_u32_e32 v56, v1, v0
	v_lshrrev_b32_e32 v1, 5, v45
	v_add_nc_u32_e32 v58, v2, v0
	v_lshlrev_b32_e32 v3, 3, v54
	v_lshlrev_b32_e32 v65, 4, v0
	;; [unrolled: 1-line block ×3, first 2 shown]
	v_add_nc_u32_e32 v57, v1, v0
	v_lshlrev_b32_e32 v1, 3, v58
	ds_store_b64 v3, v[15:16] offset:14336
	ds_store_b64 v2, v[17:18] offset:16384
	;; [unrolled: 1-line block ×3, first 2 shown]
	v_lshlrev_b32_e32 v2, 3, v57
	ds_store_b64 v1, v[21:22] offset:20480
	v_lshrrev_b32_e32 v1, 5, v47
	v_lshrrev_b32_e32 v3, 5, v46
	;; [unrolled: 1-line block ×3, first 2 shown]
	ds_store_b64 v2, v[23:24] offset:22528
	v_lshrrev_b32_e32 v2, 5, v49
	v_add_nc_u32_e32 v61, v1, v0
	v_lshrrev_b32_e32 v1, 1, v0
	v_add_nc_u32_e32 v59, v3, v0
	v_add_nc_u32_e32 v60, v4, v0
	;; [unrolled: 1-line block ×3, first 2 shown]
	v_lshlrev_b32_e32 v3, 3, v61
	v_add_nc_u32_e32 v67, v1, v65
	v_lshlrev_b32_e32 v2, 3, v59
	v_lshlrev_b32_e32 v4, 3, v60
	;; [unrolled: 1-line block ×3, first 2 shown]
	ds_store_b64 v2, v[25:26] offset:24576
	ds_store_b64 v3, v[27:28] offset:26624
	ds_store_b64 v4, v[29:30] offset:28672
	v_lshlrev_b32_e32 v5, 3, v67
	ds_store_b64 v1, v[31:32] offset:30720
	s_waitcnt lgkmcnt(0)
	s_barrier
	buffer_gl0_inv
	ds_load_2addr_b64 v[29:32], v5 offset1:1
	ds_load_2addr_b64 v[25:28], v5 offset0:2 offset1:3
	ds_load_2addr_b64 v[21:24], v5 offset0:4 offset1:5
	;; [unrolled: 1-line block ×7, first 2 shown]
	s_cmp_eq_u64 s[40:41], 0
	s_cbranch_scc1 .LBB32_109
; %bb.101:
	s_and_not1_b32 vcc_lo, exec_lo, s48
	s_cbranch_vccnz .LBB32_105
; %bb.102:
	s_lshl_b64 s[42:43], s[40:41], 3
	s_delay_alu instid0(SALU_CYCLE_1)
	s_add_u32 s19, s26, s42
	s_addc_u32 s43, s27, s43
	s_add_u32 s42, s19, -8
	s_addc_u32 s43, s43, -1
	s_load_b64 s[42:43], s[42:43], 0x0
	s_waitcnt lgkmcnt(0)
	v_dual_mov_b32 v33, s42 :: v_dual_mov_b32 v34, s43
	s_cbranch_execz .LBB32_106
	s_branch .LBB32_109
.LBB32_103:
                                        ; implicit-def: $sgpr2
                                        ; implicit-def: $vgpr66
                                        ; implicit-def: $vgpr35_vgpr36
                                        ; implicit-def: $vgpr37_vgpr38
                                        ; implicit-def: $vgpr39_vgpr40
                                        ; implicit-def: $vgpr41_vgpr42
                                        ; implicit-def: $vgpr43_vgpr44
                                        ; implicit-def: $vgpr45_vgpr46
                                        ; implicit-def: $vgpr47_vgpr48
                                        ; implicit-def: $vgpr49_vgpr50
                                        ; implicit-def: $vgpr51_vgpr52
                                        ; implicit-def: $vgpr53_vgpr54
                                        ; implicit-def: $vgpr55_vgpr56
                                        ; implicit-def: $vgpr57_vgpr58
                                        ; implicit-def: $vgpr59_vgpr60
                                        ; implicit-def: $vgpr61_vgpr62
                                        ; implicit-def: $vgpr63_vgpr64
                                        ; implicit-def: $sgpr4_sgpr5
	s_cbranch_execnz .LBB32_159
	s_branch .LBB32_253
.LBB32_104:
                                        ; implicit-def: $vgpr33_vgpr34
	s_branch .LBB32_3
.LBB32_105:
                                        ; implicit-def: $sgpr42_sgpr43
	v_dual_mov_b32 v33, s42 :: v_dual_mov_b32 v34, s43
.LBB32_106:
	s_add_u32 s42, s36, -1
	s_addc_u32 s43, s37, -1
	s_delay_alu instid0(SALU_CYCLE_1) | instskip(SKIP_1) | instid1(SALU_CYCLE_1)
	s_or_b64 s[46:47], s[42:43], s[38:39]
	s_mov_b32 s46, 0
	s_cmp_lg_u64 s[46:47], 0
	s_cbranch_scc0 .LBB32_350
; %bb.107:
	v_cvt_f32_u32_e32 v33, s38
	v_cvt_f32_u32_e32 v34, s39
	s_sub_u32 s50, 0, s38
	s_subb_u32 s51, 0, s39
	s_delay_alu instid0(VALU_DEP_1) | instskip(NEXT) | instid1(VALU_DEP_1)
	v_fmamk_f32 v33, v34, 0x4f800000, v33
	v_rcp_f32_e32 v33, v33
	s_waitcnt_depctr 0xfff
	v_mul_f32_e32 v33, 0x5f7ffffc, v33
	s_delay_alu instid0(VALU_DEP_1) | instskip(NEXT) | instid1(VALU_DEP_1)
	v_mul_f32_e32 v34, 0x2f800000, v33
	v_trunc_f32_e32 v34, v34
	s_delay_alu instid0(VALU_DEP_1) | instskip(SKIP_1) | instid1(VALU_DEP_2)
	v_fmamk_f32 v33, v34, 0xcf800000, v33
	v_cvt_u32_f32_e32 v34, v34
	v_cvt_u32_f32_e32 v33, v33
	s_delay_alu instid0(VALU_DEP_2) | instskip(NEXT) | instid1(VALU_DEP_2)
	v_readfirstlane_b32 s19, v34
	v_readfirstlane_b32 s47, v33
	s_delay_alu instid0(VALU_DEP_2) | instskip(NEXT) | instid1(VALU_DEP_1)
	s_mul_i32 s52, s50, s19
	s_mul_hi_u32 s54, s50, s47
	s_mul_i32 s53, s51, s47
	s_add_i32 s52, s54, s52
	s_mul_i32 s55, s50, s47
	s_add_i32 s52, s52, s53
	s_mul_hi_u32 s54, s47, s55
	s_mul_hi_u32 s56, s19, s55
	s_mul_i32 s53, s19, s55
	s_mul_hi_u32 s55, s47, s52
	s_mul_i32 s47, s47, s52
	s_mul_hi_u32 s57, s19, s52
	s_add_u32 s47, s54, s47
	s_addc_u32 s54, 0, s55
	s_add_u32 s47, s47, s53
	s_mul_i32 s52, s19, s52
	s_addc_u32 s47, s54, s56
	s_addc_u32 s53, s57, 0
	s_add_u32 s47, s47, s52
	s_addc_u32 s52, 0, s53
	v_add_co_u32 v33, s47, v33, s47
	s_delay_alu instid0(VALU_DEP_1) | instskip(SKIP_1) | instid1(VALU_DEP_1)
	s_cmp_lg_u32 s47, 0
	s_addc_u32 s19, s19, s52
	v_readfirstlane_b32 s47, v33
	s_mul_i32 s52, s50, s19
	s_delay_alu instid0(VALU_DEP_1)
	s_mul_hi_u32 s53, s50, s47
	s_mul_i32 s51, s51, s47
	s_add_i32 s52, s53, s52
	s_mul_i32 s50, s50, s47
	s_add_i32 s52, s52, s51
	s_mul_hi_u32 s53, s19, s50
	s_mul_i32 s54, s19, s50
	s_mul_hi_u32 s50, s47, s50
	s_mul_hi_u32 s55, s47, s52
	s_mul_i32 s47, s47, s52
	s_mul_hi_u32 s51, s19, s52
	s_add_u32 s47, s50, s47
	s_addc_u32 s50, 0, s55
	s_add_u32 s47, s47, s54
	s_mul_i32 s52, s19, s52
	s_addc_u32 s47, s50, s53
	s_addc_u32 s50, s51, 0
	s_add_u32 s47, s47, s52
	s_addc_u32 s50, 0, s50
	v_add_co_u32 v33, s47, v33, s47
	s_delay_alu instid0(VALU_DEP_1) | instskip(SKIP_1) | instid1(VALU_DEP_1)
	s_cmp_lg_u32 s47, 0
	s_addc_u32 s19, s19, s50
	v_readfirstlane_b32 s47, v33
	s_mul_i32 s51, s42, s19
	s_mul_hi_u32 s50, s42, s19
	s_mul_hi_u32 s52, s43, s19
	s_mul_i32 s19, s43, s19
	s_mul_hi_u32 s53, s42, s47
	s_mul_hi_u32 s54, s43, s47
	s_mul_i32 s47, s43, s47
	s_add_u32 s51, s53, s51
	s_addc_u32 s50, 0, s50
	s_add_u32 s47, s51, s47
	s_addc_u32 s47, s50, s54
	s_addc_u32 s50, s52, 0
	s_add_u32 s47, s47, s19
	s_addc_u32 s50, 0, s50
	s_mul_hi_u32 s19, s38, s47
	s_mul_i32 s52, s38, s50
	s_mul_i32 s53, s38, s47
	s_add_i32 s19, s19, s52
	v_sub_co_u32 v33, s52, s42, s53
	s_mul_i32 s51, s39, s47
	s_delay_alu instid0(SALU_CYCLE_1) | instskip(NEXT) | instid1(VALU_DEP_1)
	s_add_i32 s19, s19, s51
	v_sub_co_u32 v34, s53, v33, s38
	s_sub_i32 s51, s43, s19
	s_cmp_lg_u32 s52, 0
	s_subb_u32 s51, s51, s39
	s_cmp_lg_u32 s53, 0
	v_cmp_le_u32_e32 vcc_lo, s38, v34
	s_subb_u32 s51, s51, 0
	s_delay_alu instid0(SALU_CYCLE_1)
	s_cmp_ge_u32 s51, s39
	v_cndmask_b32_e64 v34, 0, -1, vcc_lo
	s_cselect_b32 s53, -1, 0
	s_cmp_eq_u32 s51, s39
	s_cselect_b32 vcc_lo, -1, 0
	s_add_u32 s51, s47, 1
	v_cndmask_b32_e32 v34, s53, v34, vcc_lo
	s_addc_u32 s53, s50, 0
	s_add_u32 s54, s47, 2
	s_addc_u32 s55, s50, 0
	v_mov_b32_e32 v63, s54
	s_cmp_lg_u32 s52, 0
	v_cmp_le_u32_e32 vcc_lo, s38, v33
	s_subb_u32 s19, s43, s19
	s_delay_alu instid0(SALU_CYCLE_1)
	s_cmp_ge_u32 s19, s39
	v_cndmask_b32_e64 v33, 0, -1, vcc_lo
	s_cselect_b32 s43, -1, 0
	s_cmp_eq_u32 s19, s39
	v_cmp_ne_u32_e32 vcc_lo, 0, v34
	s_cselect_b32 s19, -1, 0
	v_mov_b32_e32 v34, s55
	v_cndmask_b32_e64 v33, s43, v33, s19
	v_cndmask_b32_e32 v63, s51, v63, vcc_lo
	s_delay_alu instid0(VALU_DEP_3) | instskip(NEXT) | instid1(VALU_DEP_3)
	v_cndmask_b32_e32 v34, s53, v34, vcc_lo
	v_cmp_ne_u32_e32 vcc_lo, 0, v33
	s_delay_alu instid0(VALU_DEP_2) | instskip(NEXT) | instid1(VALU_DEP_4)
	v_cndmask_b32_e32 v34, s50, v34, vcc_lo
	v_cndmask_b32_e32 v33, s47, v63, vcc_lo
	s_and_not1_b32 vcc_lo, exec_lo, s46
	s_cbranch_vccnz .LBB32_109
.LBB32_108:
	v_cvt_f32_u32_e32 v33, s38
	s_sub_i32 s43, 0, s38
	s_delay_alu instid0(VALU_DEP_1) | instskip(SKIP_2) | instid1(VALU_DEP_1)
	v_rcp_iflag_f32_e32 v33, v33
	s_waitcnt_depctr 0xfff
	v_mul_f32_e32 v33, 0x4f7ffffe, v33
	v_cvt_u32_f32_e32 v33, v33
	s_delay_alu instid0(VALU_DEP_1) | instskip(NEXT) | instid1(VALU_DEP_1)
	v_readfirstlane_b32 s19, v33
	s_mul_i32 s43, s43, s19
	s_delay_alu instid0(SALU_CYCLE_1) | instskip(NEXT) | instid1(SALU_CYCLE_1)
	s_mul_hi_u32 s43, s19, s43
	s_add_i32 s19, s19, s43
	s_delay_alu instid0(SALU_CYCLE_1) | instskip(NEXT) | instid1(SALU_CYCLE_1)
	s_mul_hi_u32 s19, s42, s19
	s_mul_i32 s43, s19, s38
	s_delay_alu instid0(SALU_CYCLE_1)
	s_sub_i32 s42, s42, s43
	s_add_i32 s43, s19, 1
	s_sub_i32 s46, s42, s38
	s_cmp_ge_u32 s42, s38
	s_cselect_b32 s19, s43, s19
	s_cselect_b32 s42, s46, s42
	s_add_i32 s46, s19, 1
	s_cmp_ge_u32 s42, s38
	s_mov_b32 s43, 0
	s_cselect_b32 s42, s46, s19
	s_delay_alu instid0(SALU_CYCLE_1)
	v_dual_mov_b32 v33, s42 :: v_dual_mov_b32 v34, s43
.LBB32_109:
	v_lshlrev_b32_e32 v63, 3, v0
	s_mov_b32 s19, exec_lo
	s_waitcnt lgkmcnt(0)
	ds_store_b64 v63, v[7:8] offset:33792
	s_waitcnt lgkmcnt(0)
	s_barrier
	buffer_gl0_inv
	v_cmpx_ne_u32_e32 0, v0
	s_cbranch_execz .LBB32_111
; %bb.110:
	ds_load_b64 v[33:34], v63 offset:33784
.LBB32_111:
	s_or_b32 exec_lo, exec_lo, s19
	s_waitcnt lgkmcnt(0)
	s_barrier
	buffer_gl0_inv
                                        ; implicit-def: $vgpr63
	s_and_saveexec_b32 s19, s2
	s_cbranch_execnz .LBB32_226
; %bb.112:
	s_or_b32 exec_lo, exec_lo, s19
                                        ; implicit-def: $vgpr64
	s_and_saveexec_b32 s2, s3
	s_cbranch_execnz .LBB32_227
.LBB32_113:
	s_or_b32 exec_lo, exec_lo, s2
                                        ; implicit-def: $vgpr66
	s_and_saveexec_b32 s2, s4
	s_cbranch_execnz .LBB32_228
.LBB32_114:
	s_or_b32 exec_lo, exec_lo, s2
                                        ; implicit-def: $vgpr68
	s_and_saveexec_b32 s2, s5
	s_cbranch_execnz .LBB32_229
.LBB32_115:
	s_or_b32 exec_lo, exec_lo, s2
                                        ; implicit-def: $vgpr69
	s_and_saveexec_b32 s2, s6
	s_cbranch_execnz .LBB32_230
.LBB32_116:
	s_or_b32 exec_lo, exec_lo, s2
                                        ; implicit-def: $vgpr36
	s_and_saveexec_b32 s2, s7
	s_cbranch_execnz .LBB32_231
.LBB32_117:
	s_or_b32 exec_lo, exec_lo, s2
                                        ; implicit-def: $vgpr38
	s_and_saveexec_b32 s2, s8
	s_cbranch_execnz .LBB32_232
.LBB32_118:
	s_or_b32 exec_lo, exec_lo, s2
                                        ; implicit-def: $vgpr40
	s_and_saveexec_b32 s2, s9
	s_cbranch_execnz .LBB32_233
.LBB32_119:
	s_or_b32 exec_lo, exec_lo, s2
                                        ; implicit-def: $vgpr41
	s_and_saveexec_b32 s2, s10
	s_cbranch_execnz .LBB32_234
.LBB32_120:
	s_or_b32 exec_lo, exec_lo, s2
                                        ; implicit-def: $vgpr42
	s_and_saveexec_b32 s2, s11
	s_cbranch_execnz .LBB32_235
.LBB32_121:
	s_or_b32 exec_lo, exec_lo, s2
                                        ; implicit-def: $vgpr43
	s_and_saveexec_b32 s2, s12
	s_cbranch_execnz .LBB32_236
.LBB32_122:
	s_or_b32 exec_lo, exec_lo, s2
                                        ; implicit-def: $vgpr44
	s_and_saveexec_b32 s2, s13
	s_cbranch_execnz .LBB32_237
.LBB32_123:
	s_or_b32 exec_lo, exec_lo, s2
                                        ; implicit-def: $vgpr45
	s_and_saveexec_b32 s2, s14
	s_cbranch_execnz .LBB32_238
.LBB32_124:
	s_or_b32 exec_lo, exec_lo, s2
                                        ; implicit-def: $vgpr46
	s_and_saveexec_b32 s2, s16
	s_cbranch_execnz .LBB32_239
.LBB32_125:
	s_or_b32 exec_lo, exec_lo, s2
                                        ; implicit-def: $vgpr47
	s_and_saveexec_b32 s2, s17
	s_cbranch_execnz .LBB32_240
.LBB32_126:
	s_or_b32 exec_lo, exec_lo, s2
                                        ; implicit-def: $vgpr48
	s_and_saveexec_b32 s2, s18
	s_cbranch_execz .LBB32_128
.LBB32_127:
	v_lshlrev_b32_e32 v48, 2, v49
	s_delay_alu instid0(VALU_DEP_1) | instskip(NEXT) | instid1(VALU_DEP_1)
	v_add_co_u32 v48, s3, s31, v48
	v_add_co_ci_u32_e64 v49, null, s33, 0, s3
	flat_load_b32 v48, v[48:49]
.LBB32_128:
	s_or_b32 exec_lo, exec_lo, s2
	v_lshlrev_b32_e32 v37, 2, v37
	v_lshlrev_b32_e32 v35, 2, v35
	v_lshlrev_b32_e32 v49, 2, v53
	v_lshlrev_b32_e32 v52, 2, v52
	v_cmp_gt_u32_e32 vcc_lo, s49, v65
	s_waitcnt vmcnt(0) lgkmcnt(0)
	ds_store_b32 v37, v63
	ds_store_b32 v35, v64 offset:1024
	v_lshlrev_b32_e32 v35, 2, v39
	v_lshlrev_b32_e32 v37, 2, v51
	;; [unrolled: 1-line block ×3, first 2 shown]
	ds_store_b32 v49, v66 offset:2048
	ds_store_b32 v52, v68 offset:3072
	;; [unrolled: 1-line block ×4, first 2 shown]
	v_lshlrev_b32_e32 v35, 2, v54
	v_lshlrev_b32_e32 v36, 2, v56
	;; [unrolled: 1-line block ×3, first 2 shown]
	ds_store_b32 v39, v38 offset:6144
	v_lshlrev_b32_e32 v38, 2, v58
	ds_store_b32 v35, v40 offset:7168
	ds_store_b32 v36, v41 offset:8192
	v_lshlrev_b32_e32 v35, 2, v57
	v_lshlrev_b32_e32 v36, 2, v59
	ds_store_b32 v37, v42 offset:9216
	ds_store_b32 v38, v43 offset:10240
	v_lshlrev_b32_e32 v37, 2, v61
	s_mov_b32 s6, 0
	ds_store_b32 v35, v44 offset:11264
	ds_store_b32 v36, v45 offset:12288
	;; [unrolled: 1-line block ×3, first 2 shown]
	v_mov_b32_e32 v35, 0
	v_mov_b32_e32 v36, 0
	v_lshlrev_b32_e32 v38, 2, v60
	v_lshlrev_b32_e32 v39, 2, v62
	ds_store_b32 v38, v47 offset:14336
	ds_store_b32 v39, v48 offset:15360
	v_mov_b32_e32 v48, v36
	v_mov_b32_e32 v42, v36
	;; [unrolled: 1-line block ×3, first 2 shown]
	v_dual_mov_b32 v46, v36 :: v_dual_mov_b32 v41, v35
	v_dual_mov_b32 v50, v36 :: v_dual_mov_b32 v43, v35
	;; [unrolled: 1-line block ×4, first 2 shown]
	v_mov_b32_e32 v56, v36
	v_mov_b32_e32 v38, v36
	v_dual_mov_b32 v40, v36 :: v_dual_mov_b32 v49, v35
	v_dual_mov_b32 v58, v36 :: v_dual_mov_b32 v51, v35
	;; [unrolled: 1-line block ×5, first 2 shown]
	v_mov_b32_e32 v39, v35
	v_mov_b32_e32 v57, v35
	;; [unrolled: 1-line block ×5, first 2 shown]
	s_mov_b64 s[4:5], 0
	s_mov_b32 s3, 0
	s_waitcnt lgkmcnt(0)
	s_barrier
	buffer_gl0_inv
                                        ; implicit-def: $sgpr2
                                        ; implicit-def: $vgpr66
	s_and_saveexec_b32 s7, vcc_lo
	s_cbranch_execz .LBB32_158
; %bb.129:
	v_lshlrev_b32_e32 v67, 2, v67
	v_mov_b32_e32 v37, 0
	v_mov_b32_e32 v38, 0
	v_cmp_ne_u64_e32 vcc_lo, v[33:34], v[29:30]
	v_or_b32_e32 v39, 1, v65
	ds_load_b32 v35, v67
                                        ; implicit-def: $sgpr2
                                        ; implicit-def: $vgpr66
	v_dual_mov_b32 v42, v38 :: v_dual_mov_b32 v41, v37
	v_cndmask_b32_e64 v36, 0, 1, vcc_lo
	v_cmp_gt_u32_e32 vcc_lo, s49, v39
	v_dual_mov_b32 v40, v38 :: v_dual_mov_b32 v39, v37
	v_dual_mov_b32 v44, v38 :: v_dual_mov_b32 v43, v37
	;; [unrolled: 1-line block ×12, first 2 shown]
	s_and_saveexec_b32 s8, vcc_lo
	s_cbranch_execz .LBB32_157
; %bb.130:
	ds_load_2addr_b32 v[33:34], v67 offset0:1 offset1:2
	v_mov_b32_e32 v39, 0
	v_cmp_ne_u64_e32 vcc_lo, v[29:30], v[31:32]
	v_or_b32_e32 v37, 2, v65
	v_mov_b32_e32 v40, 0
                                        ; implicit-def: $sgpr2
                                        ; implicit-def: $vgpr66
	v_cndmask_b32_e64 v38, 0, 1, vcc_lo
	s_delay_alu instid0(VALU_DEP_3) | instskip(SKIP_1) | instid1(VALU_DEP_3)
	v_cmp_gt_u32_e32 vcc_lo, s49, v37
	s_waitcnt lgkmcnt(0)
	v_dual_mov_b32 v37, v33 :: v_dual_mov_b32 v42, v40
	v_dual_mov_b32 v41, v39 :: v_dual_mov_b32 v44, v40
	;; [unrolled: 1-line block ×12, first 2 shown]
	v_mov_b32_e32 v63, v39
	s_and_saveexec_b32 s9, vcc_lo
	s_cbranch_execz .LBB32_156
; %bb.131:
	v_mov_b32_e32 v41, 0
	v_cmp_ne_u64_e32 vcc_lo, v[31:32], v[25:26]
	v_dual_mov_b32 v42, 0 :: v_dual_mov_b32 v39, v34
	v_or_b32_e32 v29, 3, v65
	s_mov_b32 s10, exec_lo
                                        ; implicit-def: $sgpr2
                                        ; implicit-def: $vgpr66
	v_cndmask_b32_e64 v40, 0, 1, vcc_lo
	s_delay_alu instid0(VALU_DEP_3)
	v_dual_mov_b32 v44, v42 :: v_dual_mov_b32 v43, v41
	v_dual_mov_b32 v46, v42 :: v_dual_mov_b32 v45, v41
	;; [unrolled: 1-line block ×11, first 2 shown]
	v_cmpx_gt_u32_e64 s49, v29
	s_cbranch_execz .LBB32_155
; %bb.132:
	ds_load_2addr_b32 v[29:30], v67 offset0:3 offset1:4
	v_mov_b32_e32 v43, 0
	v_cmp_ne_u64_e32 vcc_lo, v[25:26], v[27:28]
	v_mov_b32_e32 v44, 0
	v_or_b32_e32 v31, 4, v65
	s_mov_b32 s11, exec_lo
                                        ; implicit-def: $sgpr2
                                        ; implicit-def: $vgpr66
	v_cndmask_b32_e64 v42, 0, 1, vcc_lo
	s_waitcnt lgkmcnt(0)
	v_dual_mov_b32 v41, v29 :: v_dual_mov_b32 v46, v44
	v_dual_mov_b32 v45, v43 :: v_dual_mov_b32 v48, v44
	;; [unrolled: 1-line block ×10, first 2 shown]
	v_mov_b32_e32 v63, v43
	v_cmpx_gt_u32_e64 s49, v31
	s_cbranch_execz .LBB32_154
; %bb.133:
	v_mov_b32_e32 v45, 0
	v_cmp_ne_u64_e32 vcc_lo, v[27:28], v[21:22]
	v_dual_mov_b32 v46, 0 :: v_dual_mov_b32 v43, v30
	v_or_b32_e32 v25, 5, v65
	s_mov_b32 s12, exec_lo
                                        ; implicit-def: $sgpr2
                                        ; implicit-def: $vgpr66
	v_cndmask_b32_e64 v44, 0, 1, vcc_lo
	s_delay_alu instid0(VALU_DEP_3)
	v_dual_mov_b32 v48, v46 :: v_dual_mov_b32 v47, v45
	v_dual_mov_b32 v50, v46 :: v_dual_mov_b32 v49, v45
	;; [unrolled: 1-line block ×9, first 2 shown]
	v_cmpx_gt_u32_e64 s49, v25
	s_cbranch_execz .LBB32_153
; %bb.134:
	ds_load_2addr_b32 v[25:26], v67 offset0:5 offset1:6
	v_mov_b32_e32 v47, 0
	v_cmp_ne_u64_e32 vcc_lo, v[21:22], v[23:24]
	v_mov_b32_e32 v48, 0
	v_or_b32_e32 v27, 6, v65
	s_mov_b32 s13, exec_lo
                                        ; implicit-def: $sgpr2
                                        ; implicit-def: $vgpr66
	v_cndmask_b32_e64 v46, 0, 1, vcc_lo
	s_waitcnt lgkmcnt(0)
	v_dual_mov_b32 v45, v25 :: v_dual_mov_b32 v50, v48
	v_dual_mov_b32 v49, v47 :: v_dual_mov_b32 v52, v48
	;; [unrolled: 1-line block ×8, first 2 shown]
	v_mov_b32_e32 v63, v47
	v_cmpx_gt_u32_e64 s49, v27
	s_cbranch_execz .LBB32_152
; %bb.135:
	v_mov_b32_e32 v49, 0
	v_cmp_ne_u64_e32 vcc_lo, v[23:24], v[17:18]
	v_dual_mov_b32 v50, 0 :: v_dual_mov_b32 v47, v26
	v_or_b32_e32 v21, 7, v65
	s_mov_b32 s14, exec_lo
                                        ; implicit-def: $sgpr2
                                        ; implicit-def: $vgpr66
	v_cndmask_b32_e64 v48, 0, 1, vcc_lo
	s_delay_alu instid0(VALU_DEP_3)
	v_dual_mov_b32 v52, v50 :: v_dual_mov_b32 v51, v49
	v_dual_mov_b32 v54, v50 :: v_dual_mov_b32 v53, v49
	;; [unrolled: 1-line block ×7, first 2 shown]
	v_cmpx_gt_u32_e64 s49, v21
	s_cbranch_execz .LBB32_151
; %bb.136:
	ds_load_2addr_b32 v[21:22], v67 offset0:7 offset1:8
	v_mov_b32_e32 v51, 0
	v_cmp_ne_u64_e32 vcc_lo, v[17:18], v[19:20]
	v_mov_b32_e32 v52, 0
	v_or_b32_e32 v23, 8, v65
	s_mov_b32 s16, exec_lo
                                        ; implicit-def: $sgpr2
                                        ; implicit-def: $vgpr66
	v_cndmask_b32_e64 v50, 0, 1, vcc_lo
	s_waitcnt lgkmcnt(0)
	v_dual_mov_b32 v49, v21 :: v_dual_mov_b32 v54, v52
	v_dual_mov_b32 v53, v51 :: v_dual_mov_b32 v56, v52
	;; [unrolled: 1-line block ×6, first 2 shown]
	v_mov_b32_e32 v63, v51
	v_cmpx_gt_u32_e64 s49, v23
	s_cbranch_execz .LBB32_150
; %bb.137:
	v_mov_b32_e32 v53, 0
	v_cmp_ne_u64_e32 vcc_lo, v[19:20], v[13:14]
	v_dual_mov_b32 v54, 0 :: v_dual_mov_b32 v51, v22
	v_or_b32_e32 v17, 9, v65
	s_mov_b32 s17, exec_lo
                                        ; implicit-def: $sgpr2
                                        ; implicit-def: $vgpr66
	v_cndmask_b32_e64 v52, 0, 1, vcc_lo
	s_delay_alu instid0(VALU_DEP_3)
	v_dual_mov_b32 v56, v54 :: v_dual_mov_b32 v55, v53
	v_dual_mov_b32 v58, v54 :: v_dual_mov_b32 v57, v53
	;; [unrolled: 1-line block ×5, first 2 shown]
	v_cmpx_gt_u32_e64 s49, v17
	s_cbranch_execz .LBB32_149
; %bb.138:
	ds_load_2addr_b32 v[17:18], v67 offset0:9 offset1:10
	v_mov_b32_e32 v55, 0
	v_cmp_ne_u64_e32 vcc_lo, v[13:14], v[15:16]
	v_mov_b32_e32 v56, 0
	v_or_b32_e32 v19, 10, v65
	s_mov_b32 s18, exec_lo
                                        ; implicit-def: $sgpr2
                                        ; implicit-def: $vgpr66
	v_cndmask_b32_e64 v54, 0, 1, vcc_lo
	s_waitcnt lgkmcnt(0)
	v_dual_mov_b32 v53, v17 :: v_dual_mov_b32 v58, v56
	v_dual_mov_b32 v57, v55 :: v_dual_mov_b32 v60, v56
	;; [unrolled: 1-line block ×4, first 2 shown]
	v_mov_b32_e32 v63, v55
	v_cmpx_gt_u32_e64 s49, v19
	s_cbranch_execz .LBB32_148
; %bb.139:
	v_mov_b32_e32 v57, 0
	v_cmp_ne_u64_e32 vcc_lo, v[15:16], v[9:10]
	v_dual_mov_b32 v58, 0 :: v_dual_mov_b32 v55, v18
	v_or_b32_e32 v13, 11, v65
	s_mov_b32 s19, exec_lo
                                        ; implicit-def: $sgpr2
                                        ; implicit-def: $vgpr66
	v_cndmask_b32_e64 v56, 0, 1, vcc_lo
	s_delay_alu instid0(VALU_DEP_3)
	v_dual_mov_b32 v60, v58 :: v_dual_mov_b32 v59, v57
	v_dual_mov_b32 v62, v58 :: v_dual_mov_b32 v61, v57
	;; [unrolled: 1-line block ×3, first 2 shown]
	v_cmpx_gt_u32_e64 s49, v13
	s_cbranch_execz .LBB32_147
; %bb.140:
	ds_load_2addr_b32 v[13:14], v67 offset0:11 offset1:12
	v_mov_b32_e32 v59, 0
	v_cmp_ne_u64_e32 vcc_lo, v[9:10], v[11:12]
	v_mov_b32_e32 v60, 0
	v_or_b32_e32 v15, 12, v65
	s_mov_b32 s42, exec_lo
                                        ; implicit-def: $sgpr2
                                        ; implicit-def: $vgpr66
	v_cndmask_b32_e64 v58, 0, 1, vcc_lo
	s_waitcnt lgkmcnt(0)
	v_dual_mov_b32 v57, v13 :: v_dual_mov_b32 v62, v60
	v_dual_mov_b32 v61, v59 :: v_dual_mov_b32 v64, v60
	v_mov_b32_e32 v63, v59
	v_cmpx_gt_u32_e64 s49, v15
	s_cbranch_execz .LBB32_146
; %bb.141:
	v_mov_b32_e32 v61, 0
	v_cmp_ne_u64_e32 vcc_lo, v[11:12], v[1:2]
	v_dual_mov_b32 v62, 0 :: v_dual_mov_b32 v59, v14
	v_or_b32_e32 v9, 13, v65
	s_mov_b32 s43, exec_lo
                                        ; implicit-def: $sgpr46
                                        ; implicit-def: $vgpr66
	v_cndmask_b32_e64 v60, 0, 1, vcc_lo
	s_delay_alu instid0(VALU_DEP_3) | instskip(NEXT) | instid1(VALU_DEP_3)
	v_dual_mov_b32 v64, v62 :: v_dual_mov_b32 v63, v61
	v_cmpx_gt_u32_e64 s49, v9
	s_cbranch_execz .LBB32_145
; %bb.142:
	ds_load_2addr_b32 v[9:10], v67 offset0:13 offset1:14
	v_cmp_ne_u64_e32 vcc_lo, v[1:2], v[3:4]
	v_mov_b32_e32 v63, 0
	v_or_b32_e32 v11, 14, v65
	v_mov_b32_e32 v64, 0
	s_mov_b32 s2, 0
	s_mov_b32 s46, exec_lo
	v_cndmask_b32_e64 v62, 0, 1, vcc_lo
                                        ; implicit-def: $sgpr3
                                        ; implicit-def: $vgpr66
	s_waitcnt lgkmcnt(0)
	v_mov_b32_e32 v61, v9
	v_cmpx_gt_u32_e64 s49, v11
	s_xor_b32 s46, exec_lo, s46
	s_cbranch_execz .LBB32_144
; %bb.143:
	ds_load_b32 v66, v67 offset:60
	v_or_b32_e32 v1, 15, v65
	v_cmp_ne_u64_e64 s3, v[3:4], v[5:6]
	v_cmp_ne_u64_e32 vcc_lo, v[5:6], v[7:8]
	v_mov_b32_e32 v63, v10
	s_delay_alu instid0(VALU_DEP_4) | instskip(NEXT) | instid1(VALU_DEP_4)
	v_cmp_gt_u32_e64 s2, s49, v1
	v_cndmask_b32_e64 v64, 0, 1, s3
	s_and_b32 s3, vcc_lo, exec_lo
	s_delay_alu instid0(VALU_DEP_2)
	s_and_b32 s2, s2, exec_lo
.LBB32_144:
	s_or_b32 exec_lo, exec_lo, s46
	s_delay_alu instid0(SALU_CYCLE_1)
	s_and_b32 s46, s3, exec_lo
	s_and_b32 s3, s2, exec_lo
.LBB32_145:
	s_or_b32 exec_lo, exec_lo, s43
	s_delay_alu instid0(SALU_CYCLE_1)
	s_and_b32 s2, s46, exec_lo
	s_and_b32 s3, s3, exec_lo
.LBB32_146:
	s_or_b32 exec_lo, exec_lo, s42
	s_delay_alu instid0(SALU_CYCLE_1)
	s_and_b32 s2, s2, exec_lo
	s_and_b32 s3, s3, exec_lo
.LBB32_147:
	s_or_b32 exec_lo, exec_lo, s19
	s_delay_alu instid0(SALU_CYCLE_1)
	s_and_b32 s2, s2, exec_lo
	s_and_b32 s3, s3, exec_lo
.LBB32_148:
	s_or_b32 exec_lo, exec_lo, s18
	s_delay_alu instid0(SALU_CYCLE_1)
	s_and_b32 s2, s2, exec_lo
	s_and_b32 s3, s3, exec_lo
.LBB32_149:
	s_or_b32 exec_lo, exec_lo, s17
	s_delay_alu instid0(SALU_CYCLE_1)
	s_and_b32 s2, s2, exec_lo
	s_and_b32 s3, s3, exec_lo
.LBB32_150:
	s_or_b32 exec_lo, exec_lo, s16
	s_delay_alu instid0(SALU_CYCLE_1)
	s_and_b32 s2, s2, exec_lo
	s_and_b32 s3, s3, exec_lo
.LBB32_151:
	s_or_b32 exec_lo, exec_lo, s14
	s_delay_alu instid0(SALU_CYCLE_1)
	s_and_b32 s2, s2, exec_lo
	s_and_b32 s3, s3, exec_lo
.LBB32_152:
	s_or_b32 exec_lo, exec_lo, s13
	s_delay_alu instid0(SALU_CYCLE_1)
	s_and_b32 s2, s2, exec_lo
	s_and_b32 s3, s3, exec_lo
.LBB32_153:
	s_or_b32 exec_lo, exec_lo, s12
	s_delay_alu instid0(SALU_CYCLE_1)
	s_and_b32 s2, s2, exec_lo
	s_and_b32 s3, s3, exec_lo
.LBB32_154:
	s_or_b32 exec_lo, exec_lo, s11
	s_delay_alu instid0(SALU_CYCLE_1)
	s_and_b32 s2, s2, exec_lo
	s_and_b32 s3, s3, exec_lo
.LBB32_155:
	s_or_b32 exec_lo, exec_lo, s10
	s_delay_alu instid0(SALU_CYCLE_1)
	s_and_b32 s2, s2, exec_lo
	s_and_b32 s3, s3, exec_lo
.LBB32_156:
	s_or_b32 exec_lo, exec_lo, s9
	s_delay_alu instid0(SALU_CYCLE_1)
	s_and_b32 s2, s2, exec_lo
	s_and_b32 s3, s3, exec_lo
.LBB32_157:
	s_or_b32 exec_lo, exec_lo, s8
	s_delay_alu instid0(SALU_CYCLE_1)
	s_and_b32 s2, s2, exec_lo
	s_and_b32 s3, s3, exec_lo
.LBB32_158:
	s_or_b32 exec_lo, exec_lo, s7
	s_delay_alu instid0(SALU_CYCLE_1)
	s_and_b32 vcc_lo, exec_lo, s6
	s_cbranch_vccz .LBB32_253
.LBB32_159:
	v_add_co_u32 v31, s2, s36, v0
	s_delay_alu instid0(VALU_DEP_1) | instskip(SKIP_1) | instid1(VALU_DEP_2)
	v_add_co_ci_u32_e64 v32, null, s37, 0, s2
	v_mov_b32_e32 v1, 0
	v_or_b32_e32 v2, s39, v32
	s_delay_alu instid0(VALU_DEP_1) | instskip(SKIP_1) | instid1(SALU_CYCLE_1)
	v_cmp_ne_u64_e32 vcc_lo, 0, v[1:2]
                                        ; implicit-def: $vgpr1_vgpr2
	s_and_saveexec_b32 s2, vcc_lo
	s_xor_b32 s3, exec_lo, s2
	s_cbranch_execz .LBB32_161
; %bb.160:
	v_cvt_f32_u32_e32 v1, s38
	v_cvt_f32_u32_e32 v2, s39
	s_sub_u32 s2, 0, s38
	s_subb_u32 s4, 0, s39
	s_delay_alu instid0(VALU_DEP_1) | instskip(NEXT) | instid1(VALU_DEP_1)
	v_fmamk_f32 v1, v2, 0x4f800000, v1
	v_rcp_f32_e32 v1, v1
	s_waitcnt_depctr 0xfff
	v_mul_f32_e32 v1, 0x5f7ffffc, v1
	s_delay_alu instid0(VALU_DEP_1) | instskip(NEXT) | instid1(VALU_DEP_1)
	v_mul_f32_e32 v2, 0x2f800000, v1
	v_trunc_f32_e32 v2, v2
	s_delay_alu instid0(VALU_DEP_1) | instskip(SKIP_1) | instid1(VALU_DEP_2)
	v_fmamk_f32 v1, v2, 0xcf800000, v1
	v_cvt_u32_f32_e32 v2, v2
	v_cvt_u32_f32_e32 v1, v1
	s_delay_alu instid0(VALU_DEP_2) | instskip(NEXT) | instid1(VALU_DEP_2)
	v_mul_lo_u32 v3, s2, v2
	v_mul_hi_u32 v4, s2, v1
	v_mul_lo_u32 v5, s4, v1
	s_delay_alu instid0(VALU_DEP_2) | instskip(SKIP_1) | instid1(VALU_DEP_2)
	v_add_nc_u32_e32 v3, v4, v3
	v_mul_lo_u32 v4, s2, v1
	v_add_nc_u32_e32 v3, v3, v5
	s_delay_alu instid0(VALU_DEP_2) | instskip(NEXT) | instid1(VALU_DEP_2)
	v_mul_hi_u32 v5, v1, v4
	v_mul_lo_u32 v6, v1, v3
	v_mul_hi_u32 v7, v1, v3
	v_mul_hi_u32 v8, v2, v4
	v_mul_lo_u32 v4, v2, v4
	v_mul_hi_u32 v9, v2, v3
	v_mul_lo_u32 v3, v2, v3
	v_add_co_u32 v5, vcc_lo, v5, v6
	v_add_co_ci_u32_e32 v6, vcc_lo, 0, v7, vcc_lo
	s_delay_alu instid0(VALU_DEP_2) | instskip(NEXT) | instid1(VALU_DEP_2)
	v_add_co_u32 v4, vcc_lo, v5, v4
	v_add_co_ci_u32_e32 v4, vcc_lo, v6, v8, vcc_lo
	v_add_co_ci_u32_e32 v5, vcc_lo, 0, v9, vcc_lo
	s_delay_alu instid0(VALU_DEP_2) | instskip(NEXT) | instid1(VALU_DEP_2)
	v_add_co_u32 v3, vcc_lo, v4, v3
	v_add_co_ci_u32_e32 v4, vcc_lo, 0, v5, vcc_lo
	s_delay_alu instid0(VALU_DEP_2) | instskip(NEXT) | instid1(VALU_DEP_2)
	v_add_co_u32 v1, vcc_lo, v1, v3
	v_add_co_ci_u32_e32 v2, vcc_lo, v2, v4, vcc_lo
	s_delay_alu instid0(VALU_DEP_2) | instskip(SKIP_1) | instid1(VALU_DEP_3)
	v_mul_hi_u32 v3, s2, v1
	v_mul_lo_u32 v5, s4, v1
	v_mul_lo_u32 v4, s2, v2
	s_delay_alu instid0(VALU_DEP_1) | instskip(SKIP_1) | instid1(VALU_DEP_2)
	v_add_nc_u32_e32 v3, v3, v4
	v_mul_lo_u32 v4, s2, v1
	v_add_nc_u32_e32 v3, v3, v5
	s_delay_alu instid0(VALU_DEP_2) | instskip(NEXT) | instid1(VALU_DEP_2)
	v_mul_hi_u32 v5, v1, v4
	v_mul_lo_u32 v6, v1, v3
	v_mul_hi_u32 v7, v1, v3
	v_mul_hi_u32 v8, v2, v4
	v_mul_lo_u32 v4, v2, v4
	v_mul_hi_u32 v9, v2, v3
	v_mul_lo_u32 v3, v2, v3
	v_add_co_u32 v5, vcc_lo, v5, v6
	v_add_co_ci_u32_e32 v6, vcc_lo, 0, v7, vcc_lo
	s_delay_alu instid0(VALU_DEP_2) | instskip(NEXT) | instid1(VALU_DEP_2)
	v_add_co_u32 v4, vcc_lo, v5, v4
	v_add_co_ci_u32_e32 v4, vcc_lo, v6, v8, vcc_lo
	v_add_co_ci_u32_e32 v5, vcc_lo, 0, v9, vcc_lo
	s_delay_alu instid0(VALU_DEP_2) | instskip(NEXT) | instid1(VALU_DEP_2)
	v_add_co_u32 v3, vcc_lo, v4, v3
	v_add_co_ci_u32_e32 v4, vcc_lo, 0, v5, vcc_lo
	s_delay_alu instid0(VALU_DEP_2) | instskip(NEXT) | instid1(VALU_DEP_2)
	v_add_co_u32 v5, vcc_lo, v1, v3
	v_add_co_ci_u32_e32 v7, vcc_lo, v2, v4, vcc_lo
	s_delay_alu instid0(VALU_DEP_2) | instskip(SKIP_1) | instid1(VALU_DEP_3)
	v_mul_hi_u32 v8, v31, v5
	v_mad_u64_u32 v[3:4], null, v32, v5, 0
	v_mad_u64_u32 v[1:2], null, v31, v7, 0
	;; [unrolled: 1-line block ×3, first 2 shown]
	s_delay_alu instid0(VALU_DEP_2) | instskip(NEXT) | instid1(VALU_DEP_3)
	v_add_co_u32 v1, vcc_lo, v8, v1
	v_add_co_ci_u32_e32 v2, vcc_lo, 0, v2, vcc_lo
	s_delay_alu instid0(VALU_DEP_2) | instskip(NEXT) | instid1(VALU_DEP_2)
	v_add_co_u32 v1, vcc_lo, v1, v3
	v_add_co_ci_u32_e32 v1, vcc_lo, v2, v4, vcc_lo
	v_add_co_ci_u32_e32 v2, vcc_lo, 0, v6, vcc_lo
	s_delay_alu instid0(VALU_DEP_2) | instskip(NEXT) | instid1(VALU_DEP_2)
	v_add_co_u32 v3, vcc_lo, v1, v5
	v_add_co_ci_u32_e32 v4, vcc_lo, 0, v2, vcc_lo
	s_delay_alu instid0(VALU_DEP_2) | instskip(SKIP_1) | instid1(VALU_DEP_3)
	v_mul_lo_u32 v5, s39, v3
	v_mad_u64_u32 v[1:2], null, s38, v3, 0
	v_mul_lo_u32 v6, s38, v4
	s_delay_alu instid0(VALU_DEP_2) | instskip(NEXT) | instid1(VALU_DEP_2)
	v_sub_co_u32 v1, vcc_lo, v31, v1
	v_add3_u32 v2, v2, v6, v5
	s_delay_alu instid0(VALU_DEP_1) | instskip(NEXT) | instid1(VALU_DEP_1)
	v_sub_nc_u32_e32 v5, v32, v2
	v_subrev_co_ci_u32_e64 v5, s2, s39, v5, vcc_lo
	v_add_co_u32 v6, s2, v3, 2
	s_delay_alu instid0(VALU_DEP_1) | instskip(SKIP_3) | instid1(VALU_DEP_3)
	v_add_co_ci_u32_e64 v7, s2, 0, v4, s2
	v_sub_co_u32 v8, s2, v1, s38
	v_sub_co_ci_u32_e32 v2, vcc_lo, v32, v2, vcc_lo
	v_subrev_co_ci_u32_e64 v5, s2, 0, v5, s2
	v_cmp_le_u32_e32 vcc_lo, s38, v8
	s_delay_alu instid0(VALU_DEP_3) | instskip(SKIP_1) | instid1(VALU_DEP_4)
	v_cmp_eq_u32_e64 s2, s39, v2
	v_cndmask_b32_e64 v8, 0, -1, vcc_lo
	v_cmp_le_u32_e32 vcc_lo, s39, v5
	v_cndmask_b32_e64 v9, 0, -1, vcc_lo
	v_cmp_le_u32_e32 vcc_lo, s38, v1
	;; [unrolled: 2-line block ×3, first 2 shown]
	v_cndmask_b32_e64 v10, 0, -1, vcc_lo
	v_cmp_eq_u32_e32 vcc_lo, s39, v5
	s_delay_alu instid0(VALU_DEP_2) | instskip(SKIP_3) | instid1(VALU_DEP_3)
	v_cndmask_b32_e64 v1, v10, v1, s2
	v_cndmask_b32_e32 v5, v9, v8, vcc_lo
	v_add_co_u32 v8, vcc_lo, v3, 1
	v_add_co_ci_u32_e32 v9, vcc_lo, 0, v4, vcc_lo
	v_cmp_ne_u32_e32 vcc_lo, 0, v5
	s_delay_alu instid0(VALU_DEP_2) | instskip(SKIP_1) | instid1(VALU_DEP_2)
	v_dual_cndmask_b32 v2, v9, v7 :: v_dual_cndmask_b32 v5, v8, v6
	v_cmp_ne_u32_e32 vcc_lo, 0, v1
	v_dual_cndmask_b32 v2, v4, v2 :: v_dual_cndmask_b32 v1, v3, v5
.LBB32_161:
	s_and_not1_saveexec_b32 s2, s3
	s_cbranch_execz .LBB32_163
; %bb.162:
	v_cvt_f32_u32_e32 v1, s38
	s_sub_i32 s3, 0, s38
	s_delay_alu instid0(VALU_DEP_1) | instskip(SKIP_2) | instid1(VALU_DEP_1)
	v_rcp_iflag_f32_e32 v1, v1
	s_waitcnt_depctr 0xfff
	v_mul_f32_e32 v1, 0x4f7ffffe, v1
	v_cvt_u32_f32_e32 v1, v1
	s_delay_alu instid0(VALU_DEP_1) | instskip(NEXT) | instid1(VALU_DEP_1)
	v_mul_lo_u32 v2, s3, v1
	v_mul_hi_u32 v2, v1, v2
	s_delay_alu instid0(VALU_DEP_1) | instskip(NEXT) | instid1(VALU_DEP_1)
	v_add_nc_u32_e32 v1, v1, v2
	v_mul_hi_u32 v1, v31, v1
	s_delay_alu instid0(VALU_DEP_1) | instskip(SKIP_1) | instid1(VALU_DEP_2)
	v_mul_lo_u32 v2, v1, s38
	v_add_nc_u32_e32 v3, 1, v1
	v_sub_nc_u32_e32 v2, v31, v2
	s_delay_alu instid0(VALU_DEP_1) | instskip(SKIP_1) | instid1(VALU_DEP_2)
	v_subrev_nc_u32_e32 v4, s38, v2
	v_cmp_le_u32_e32 vcc_lo, s38, v2
	v_dual_cndmask_b32 v2, v2, v4 :: v_dual_cndmask_b32 v1, v1, v3
	s_delay_alu instid0(VALU_DEP_1) | instskip(NEXT) | instid1(VALU_DEP_2)
	v_cmp_le_u32_e32 vcc_lo, s38, v2
	v_dual_mov_b32 v2, 0 :: v_dual_add_nc_u32 v3, 1, v1
	s_delay_alu instid0(VALU_DEP_1)
	v_cndmask_b32_e32 v1, v1, v3, vcc_lo
.LBB32_163:
	s_or_b32 exec_lo, exec_lo, s2
	v_add_co_u32 v5, vcc_lo, 0x100, v31
	v_add_co_ci_u32_e32 v6, vcc_lo, 0, v32, vcc_lo
	v_mov_b32_e32 v3, 0
	s_delay_alu instid0(VALU_DEP_2) | instskip(NEXT) | instid1(VALU_DEP_1)
	v_or_b32_e32 v4, s39, v6
	v_cmp_ne_u64_e32 vcc_lo, 0, v[3:4]
                                        ; implicit-def: $vgpr3_vgpr4
	s_and_saveexec_b32 s2, vcc_lo
	s_delay_alu instid0(SALU_CYCLE_1)
	s_xor_b32 s3, exec_lo, s2
	s_cbranch_execz .LBB32_165
; %bb.164:
	v_cvt_f32_u32_e32 v3, s38
	v_cvt_f32_u32_e32 v4, s39
	s_sub_u32 s2, 0, s38
	s_subb_u32 s4, 0, s39
	s_delay_alu instid0(VALU_DEP_1) | instskip(NEXT) | instid1(VALU_DEP_1)
	v_fmamk_f32 v3, v4, 0x4f800000, v3
	v_rcp_f32_e32 v3, v3
	s_waitcnt_depctr 0xfff
	v_mul_f32_e32 v3, 0x5f7ffffc, v3
	s_delay_alu instid0(VALU_DEP_1) | instskip(NEXT) | instid1(VALU_DEP_1)
	v_mul_f32_e32 v4, 0x2f800000, v3
	v_trunc_f32_e32 v4, v4
	s_delay_alu instid0(VALU_DEP_1) | instskip(SKIP_1) | instid1(VALU_DEP_2)
	v_fmamk_f32 v3, v4, 0xcf800000, v3
	v_cvt_u32_f32_e32 v4, v4
	v_cvt_u32_f32_e32 v3, v3
	s_delay_alu instid0(VALU_DEP_2) | instskip(NEXT) | instid1(VALU_DEP_2)
	v_mul_lo_u32 v7, s2, v4
	v_mul_hi_u32 v8, s2, v3
	v_mul_lo_u32 v9, s4, v3
	s_delay_alu instid0(VALU_DEP_2) | instskip(SKIP_1) | instid1(VALU_DEP_2)
	v_add_nc_u32_e32 v7, v8, v7
	v_mul_lo_u32 v8, s2, v3
	v_add_nc_u32_e32 v7, v7, v9
	s_delay_alu instid0(VALU_DEP_2) | instskip(NEXT) | instid1(VALU_DEP_2)
	v_mul_hi_u32 v9, v3, v8
	v_mul_lo_u32 v10, v3, v7
	v_mul_hi_u32 v11, v3, v7
	v_mul_hi_u32 v12, v4, v8
	v_mul_lo_u32 v8, v4, v8
	v_mul_hi_u32 v13, v4, v7
	v_mul_lo_u32 v7, v4, v7
	v_add_co_u32 v9, vcc_lo, v9, v10
	v_add_co_ci_u32_e32 v10, vcc_lo, 0, v11, vcc_lo
	s_delay_alu instid0(VALU_DEP_2) | instskip(NEXT) | instid1(VALU_DEP_2)
	v_add_co_u32 v8, vcc_lo, v9, v8
	v_add_co_ci_u32_e32 v8, vcc_lo, v10, v12, vcc_lo
	v_add_co_ci_u32_e32 v9, vcc_lo, 0, v13, vcc_lo
	s_delay_alu instid0(VALU_DEP_2) | instskip(NEXT) | instid1(VALU_DEP_2)
	v_add_co_u32 v7, vcc_lo, v8, v7
	v_add_co_ci_u32_e32 v8, vcc_lo, 0, v9, vcc_lo
	s_delay_alu instid0(VALU_DEP_2) | instskip(NEXT) | instid1(VALU_DEP_2)
	v_add_co_u32 v3, vcc_lo, v3, v7
	v_add_co_ci_u32_e32 v4, vcc_lo, v4, v8, vcc_lo
	s_delay_alu instid0(VALU_DEP_2) | instskip(SKIP_1) | instid1(VALU_DEP_3)
	v_mul_hi_u32 v7, s2, v3
	v_mul_lo_u32 v9, s4, v3
	v_mul_lo_u32 v8, s2, v4
	s_delay_alu instid0(VALU_DEP_1) | instskip(SKIP_1) | instid1(VALU_DEP_2)
	v_add_nc_u32_e32 v7, v7, v8
	v_mul_lo_u32 v8, s2, v3
	v_add_nc_u32_e32 v7, v7, v9
	s_delay_alu instid0(VALU_DEP_2) | instskip(NEXT) | instid1(VALU_DEP_2)
	v_mul_hi_u32 v9, v3, v8
	v_mul_lo_u32 v10, v3, v7
	v_mul_hi_u32 v11, v3, v7
	v_mul_hi_u32 v12, v4, v8
	v_mul_lo_u32 v8, v4, v8
	v_mul_hi_u32 v13, v4, v7
	v_mul_lo_u32 v7, v4, v7
	v_add_co_u32 v9, vcc_lo, v9, v10
	v_add_co_ci_u32_e32 v10, vcc_lo, 0, v11, vcc_lo
	s_delay_alu instid0(VALU_DEP_2) | instskip(NEXT) | instid1(VALU_DEP_2)
	v_add_co_u32 v8, vcc_lo, v9, v8
	v_add_co_ci_u32_e32 v8, vcc_lo, v10, v12, vcc_lo
	v_add_co_ci_u32_e32 v9, vcc_lo, 0, v13, vcc_lo
	s_delay_alu instid0(VALU_DEP_2) | instskip(NEXT) | instid1(VALU_DEP_2)
	v_add_co_u32 v7, vcc_lo, v8, v7
	v_add_co_ci_u32_e32 v8, vcc_lo, 0, v9, vcc_lo
	s_delay_alu instid0(VALU_DEP_2) | instskip(NEXT) | instid1(VALU_DEP_2)
	v_add_co_u32 v9, vcc_lo, v3, v7
	v_add_co_ci_u32_e32 v11, vcc_lo, v4, v8, vcc_lo
	s_delay_alu instid0(VALU_DEP_2) | instskip(SKIP_1) | instid1(VALU_DEP_3)
	v_mul_hi_u32 v12, v5, v9
	v_mad_u64_u32 v[7:8], null, v6, v9, 0
	v_mad_u64_u32 v[3:4], null, v5, v11, 0
	;; [unrolled: 1-line block ×3, first 2 shown]
	s_delay_alu instid0(VALU_DEP_2) | instskip(NEXT) | instid1(VALU_DEP_3)
	v_add_co_u32 v3, vcc_lo, v12, v3
	v_add_co_ci_u32_e32 v4, vcc_lo, 0, v4, vcc_lo
	s_delay_alu instid0(VALU_DEP_2) | instskip(NEXT) | instid1(VALU_DEP_2)
	v_add_co_u32 v3, vcc_lo, v3, v7
	v_add_co_ci_u32_e32 v3, vcc_lo, v4, v8, vcc_lo
	v_add_co_ci_u32_e32 v4, vcc_lo, 0, v10, vcc_lo
	s_delay_alu instid0(VALU_DEP_2) | instskip(NEXT) | instid1(VALU_DEP_2)
	v_add_co_u32 v7, vcc_lo, v3, v9
	v_add_co_ci_u32_e32 v8, vcc_lo, 0, v4, vcc_lo
	s_delay_alu instid0(VALU_DEP_2) | instskip(SKIP_1) | instid1(VALU_DEP_3)
	v_mul_lo_u32 v9, s39, v7
	v_mad_u64_u32 v[3:4], null, s38, v7, 0
	v_mul_lo_u32 v10, s38, v8
	s_delay_alu instid0(VALU_DEP_2) | instskip(NEXT) | instid1(VALU_DEP_2)
	v_sub_co_u32 v3, vcc_lo, v5, v3
	v_add3_u32 v4, v4, v10, v9
	s_delay_alu instid0(VALU_DEP_1) | instskip(NEXT) | instid1(VALU_DEP_1)
	v_sub_nc_u32_e32 v9, v6, v4
	v_subrev_co_ci_u32_e64 v5, s2, s39, v9, vcc_lo
	v_add_co_u32 v9, s2, v7, 2
	s_delay_alu instid0(VALU_DEP_1) | instskip(SKIP_3) | instid1(VALU_DEP_3)
	v_add_co_ci_u32_e64 v10, s2, 0, v8, s2
	v_sub_co_u32 v11, s2, v3, s38
	v_sub_co_ci_u32_e32 v4, vcc_lo, v6, v4, vcc_lo
	v_subrev_co_ci_u32_e64 v5, s2, 0, v5, s2
	v_cmp_le_u32_e32 vcc_lo, s38, v11
	s_delay_alu instid0(VALU_DEP_3) | instskip(SKIP_1) | instid1(VALU_DEP_4)
	v_cmp_eq_u32_e64 s2, s39, v4
	v_cndmask_b32_e64 v6, 0, -1, vcc_lo
	v_cmp_le_u32_e32 vcc_lo, s39, v5
	v_cndmask_b32_e64 v11, 0, -1, vcc_lo
	v_cmp_le_u32_e32 vcc_lo, s38, v3
	;; [unrolled: 2-line block ×3, first 2 shown]
	v_cndmask_b32_e64 v12, 0, -1, vcc_lo
	v_cmp_eq_u32_e32 vcc_lo, s39, v5
	s_delay_alu instid0(VALU_DEP_2) | instskip(SKIP_3) | instid1(VALU_DEP_3)
	v_cndmask_b32_e64 v3, v12, v3, s2
	v_cndmask_b32_e32 v5, v11, v6, vcc_lo
	v_add_co_u32 v6, vcc_lo, v7, 1
	v_add_co_ci_u32_e32 v11, vcc_lo, 0, v8, vcc_lo
	v_cmp_ne_u32_e32 vcc_lo, 0, v5
	s_delay_alu instid0(VALU_DEP_2) | instskip(SKIP_1) | instid1(VALU_DEP_2)
	v_dual_cndmask_b32 v4, v11, v10 :: v_dual_cndmask_b32 v5, v6, v9
	v_cmp_ne_u32_e32 vcc_lo, 0, v3
	v_dual_cndmask_b32 v4, v8, v4 :: v_dual_cndmask_b32 v3, v7, v5
                                        ; implicit-def: $vgpr5
.LBB32_165:
	s_and_not1_saveexec_b32 s2, s3
	s_cbranch_execz .LBB32_167
; %bb.166:
	v_cvt_f32_u32_e32 v3, s38
	s_sub_i32 s3, 0, s38
	s_delay_alu instid0(VALU_DEP_1) | instskip(SKIP_2) | instid1(VALU_DEP_1)
	v_rcp_iflag_f32_e32 v3, v3
	s_waitcnt_depctr 0xfff
	v_mul_f32_e32 v3, 0x4f7ffffe, v3
	v_cvt_u32_f32_e32 v3, v3
	s_delay_alu instid0(VALU_DEP_1) | instskip(NEXT) | instid1(VALU_DEP_1)
	v_mul_lo_u32 v4, s3, v3
	v_mul_hi_u32 v4, v3, v4
	s_delay_alu instid0(VALU_DEP_1) | instskip(NEXT) | instid1(VALU_DEP_1)
	v_add_nc_u32_e32 v3, v3, v4
	v_mul_hi_u32 v3, v5, v3
	s_delay_alu instid0(VALU_DEP_1) | instskip(NEXT) | instid1(VALU_DEP_1)
	v_mul_lo_u32 v4, v3, s38
	v_sub_nc_u32_e32 v4, v5, v4
	v_add_nc_u32_e32 v5, 1, v3
	s_delay_alu instid0(VALU_DEP_2) | instskip(SKIP_1) | instid1(VALU_DEP_2)
	v_subrev_nc_u32_e32 v6, s38, v4
	v_cmp_le_u32_e32 vcc_lo, s38, v4
	v_dual_cndmask_b32 v4, v4, v6 :: v_dual_cndmask_b32 v3, v3, v5
	s_delay_alu instid0(VALU_DEP_1) | instskip(NEXT) | instid1(VALU_DEP_2)
	v_cmp_le_u32_e32 vcc_lo, s38, v4
	v_dual_mov_b32 v4, 0 :: v_dual_add_nc_u32 v5, 1, v3
	s_delay_alu instid0(VALU_DEP_1)
	v_cndmask_b32_e32 v3, v3, v5, vcc_lo
.LBB32_167:
	s_or_b32 exec_lo, exec_lo, s2
	v_add_co_u32 v7, vcc_lo, 0x200, v31
	v_add_co_ci_u32_e32 v8, vcc_lo, 0, v32, vcc_lo
	v_mov_b32_e32 v5, 0
	s_delay_alu instid0(VALU_DEP_2) | instskip(NEXT) | instid1(VALU_DEP_1)
	v_or_b32_e32 v6, s39, v8
	v_cmp_ne_u64_e32 vcc_lo, 0, v[5:6]
                                        ; implicit-def: $vgpr5_vgpr6
	s_and_saveexec_b32 s2, vcc_lo
	s_delay_alu instid0(SALU_CYCLE_1)
	s_xor_b32 s3, exec_lo, s2
	s_cbranch_execz .LBB32_169
; %bb.168:
	v_cvt_f32_u32_e32 v5, s38
	v_cvt_f32_u32_e32 v6, s39
	s_sub_u32 s2, 0, s38
	s_subb_u32 s4, 0, s39
	s_delay_alu instid0(VALU_DEP_1) | instskip(NEXT) | instid1(VALU_DEP_1)
	v_fmamk_f32 v5, v6, 0x4f800000, v5
	v_rcp_f32_e32 v5, v5
	s_waitcnt_depctr 0xfff
	v_mul_f32_e32 v5, 0x5f7ffffc, v5
	s_delay_alu instid0(VALU_DEP_1) | instskip(NEXT) | instid1(VALU_DEP_1)
	v_mul_f32_e32 v6, 0x2f800000, v5
	v_trunc_f32_e32 v6, v6
	s_delay_alu instid0(VALU_DEP_1) | instskip(SKIP_1) | instid1(VALU_DEP_2)
	v_fmamk_f32 v5, v6, 0xcf800000, v5
	v_cvt_u32_f32_e32 v6, v6
	v_cvt_u32_f32_e32 v5, v5
	s_delay_alu instid0(VALU_DEP_2) | instskip(NEXT) | instid1(VALU_DEP_2)
	v_mul_lo_u32 v9, s2, v6
	v_mul_hi_u32 v10, s2, v5
	v_mul_lo_u32 v11, s4, v5
	s_delay_alu instid0(VALU_DEP_2) | instskip(SKIP_1) | instid1(VALU_DEP_2)
	v_add_nc_u32_e32 v9, v10, v9
	v_mul_lo_u32 v10, s2, v5
	v_add_nc_u32_e32 v9, v9, v11
	s_delay_alu instid0(VALU_DEP_2) | instskip(NEXT) | instid1(VALU_DEP_2)
	v_mul_hi_u32 v11, v5, v10
	v_mul_lo_u32 v12, v5, v9
	v_mul_hi_u32 v13, v5, v9
	v_mul_hi_u32 v14, v6, v10
	v_mul_lo_u32 v10, v6, v10
	v_mul_hi_u32 v15, v6, v9
	v_mul_lo_u32 v9, v6, v9
	v_add_co_u32 v11, vcc_lo, v11, v12
	v_add_co_ci_u32_e32 v12, vcc_lo, 0, v13, vcc_lo
	s_delay_alu instid0(VALU_DEP_2) | instskip(NEXT) | instid1(VALU_DEP_2)
	v_add_co_u32 v10, vcc_lo, v11, v10
	v_add_co_ci_u32_e32 v10, vcc_lo, v12, v14, vcc_lo
	v_add_co_ci_u32_e32 v11, vcc_lo, 0, v15, vcc_lo
	s_delay_alu instid0(VALU_DEP_2) | instskip(NEXT) | instid1(VALU_DEP_2)
	v_add_co_u32 v9, vcc_lo, v10, v9
	v_add_co_ci_u32_e32 v10, vcc_lo, 0, v11, vcc_lo
	s_delay_alu instid0(VALU_DEP_2) | instskip(NEXT) | instid1(VALU_DEP_2)
	v_add_co_u32 v5, vcc_lo, v5, v9
	v_add_co_ci_u32_e32 v6, vcc_lo, v6, v10, vcc_lo
	s_delay_alu instid0(VALU_DEP_2) | instskip(SKIP_1) | instid1(VALU_DEP_3)
	v_mul_hi_u32 v9, s2, v5
	v_mul_lo_u32 v11, s4, v5
	v_mul_lo_u32 v10, s2, v6
	s_delay_alu instid0(VALU_DEP_1) | instskip(SKIP_1) | instid1(VALU_DEP_2)
	v_add_nc_u32_e32 v9, v9, v10
	v_mul_lo_u32 v10, s2, v5
	v_add_nc_u32_e32 v9, v9, v11
	s_delay_alu instid0(VALU_DEP_2) | instskip(NEXT) | instid1(VALU_DEP_2)
	v_mul_hi_u32 v11, v5, v10
	v_mul_lo_u32 v12, v5, v9
	v_mul_hi_u32 v13, v5, v9
	v_mul_hi_u32 v14, v6, v10
	v_mul_lo_u32 v10, v6, v10
	v_mul_hi_u32 v15, v6, v9
	v_mul_lo_u32 v9, v6, v9
	v_add_co_u32 v11, vcc_lo, v11, v12
	v_add_co_ci_u32_e32 v12, vcc_lo, 0, v13, vcc_lo
	s_delay_alu instid0(VALU_DEP_2) | instskip(NEXT) | instid1(VALU_DEP_2)
	v_add_co_u32 v10, vcc_lo, v11, v10
	v_add_co_ci_u32_e32 v10, vcc_lo, v12, v14, vcc_lo
	v_add_co_ci_u32_e32 v11, vcc_lo, 0, v15, vcc_lo
	s_delay_alu instid0(VALU_DEP_2) | instskip(NEXT) | instid1(VALU_DEP_2)
	v_add_co_u32 v9, vcc_lo, v10, v9
	v_add_co_ci_u32_e32 v10, vcc_lo, 0, v11, vcc_lo
	s_delay_alu instid0(VALU_DEP_2) | instskip(NEXT) | instid1(VALU_DEP_2)
	v_add_co_u32 v11, vcc_lo, v5, v9
	v_add_co_ci_u32_e32 v13, vcc_lo, v6, v10, vcc_lo
	s_delay_alu instid0(VALU_DEP_2) | instskip(SKIP_1) | instid1(VALU_DEP_3)
	v_mul_hi_u32 v14, v7, v11
	v_mad_u64_u32 v[9:10], null, v8, v11, 0
	v_mad_u64_u32 v[5:6], null, v7, v13, 0
	;; [unrolled: 1-line block ×3, first 2 shown]
	s_delay_alu instid0(VALU_DEP_2) | instskip(NEXT) | instid1(VALU_DEP_3)
	v_add_co_u32 v5, vcc_lo, v14, v5
	v_add_co_ci_u32_e32 v6, vcc_lo, 0, v6, vcc_lo
	s_delay_alu instid0(VALU_DEP_2) | instskip(NEXT) | instid1(VALU_DEP_2)
	v_add_co_u32 v5, vcc_lo, v5, v9
	v_add_co_ci_u32_e32 v5, vcc_lo, v6, v10, vcc_lo
	v_add_co_ci_u32_e32 v6, vcc_lo, 0, v12, vcc_lo
	s_delay_alu instid0(VALU_DEP_2) | instskip(NEXT) | instid1(VALU_DEP_2)
	v_add_co_u32 v9, vcc_lo, v5, v11
	v_add_co_ci_u32_e32 v10, vcc_lo, 0, v6, vcc_lo
	s_delay_alu instid0(VALU_DEP_2) | instskip(SKIP_1) | instid1(VALU_DEP_3)
	v_mul_lo_u32 v11, s39, v9
	v_mad_u64_u32 v[5:6], null, s38, v9, 0
	v_mul_lo_u32 v12, s38, v10
	s_delay_alu instid0(VALU_DEP_2) | instskip(NEXT) | instid1(VALU_DEP_2)
	v_sub_co_u32 v5, vcc_lo, v7, v5
	v_add3_u32 v6, v6, v12, v11
	s_delay_alu instid0(VALU_DEP_1) | instskip(NEXT) | instid1(VALU_DEP_1)
	v_sub_nc_u32_e32 v11, v8, v6
	v_subrev_co_ci_u32_e64 v7, s2, s39, v11, vcc_lo
	v_add_co_u32 v11, s2, v9, 2
	s_delay_alu instid0(VALU_DEP_1) | instskip(SKIP_3) | instid1(VALU_DEP_3)
	v_add_co_ci_u32_e64 v12, s2, 0, v10, s2
	v_sub_co_u32 v13, s2, v5, s38
	v_sub_co_ci_u32_e32 v6, vcc_lo, v8, v6, vcc_lo
	v_subrev_co_ci_u32_e64 v7, s2, 0, v7, s2
	v_cmp_le_u32_e32 vcc_lo, s38, v13
	s_delay_alu instid0(VALU_DEP_3) | instskip(SKIP_1) | instid1(VALU_DEP_4)
	v_cmp_eq_u32_e64 s2, s39, v6
	v_cndmask_b32_e64 v8, 0, -1, vcc_lo
	v_cmp_le_u32_e32 vcc_lo, s39, v7
	v_cndmask_b32_e64 v13, 0, -1, vcc_lo
	v_cmp_le_u32_e32 vcc_lo, s38, v5
	v_cndmask_b32_e64 v5, 0, -1, vcc_lo
	v_cmp_le_u32_e32 vcc_lo, s39, v6
	v_cndmask_b32_e64 v14, 0, -1, vcc_lo
	v_cmp_eq_u32_e32 vcc_lo, s39, v7
	s_delay_alu instid0(VALU_DEP_2) | instskip(SKIP_3) | instid1(VALU_DEP_3)
	v_cndmask_b32_e64 v5, v14, v5, s2
	v_cndmask_b32_e32 v7, v13, v8, vcc_lo
	v_add_co_u32 v8, vcc_lo, v9, 1
	v_add_co_ci_u32_e32 v13, vcc_lo, 0, v10, vcc_lo
	v_cmp_ne_u32_e32 vcc_lo, 0, v7
	s_delay_alu instid0(VALU_DEP_2) | instskip(SKIP_1) | instid1(VALU_DEP_2)
	v_dual_cndmask_b32 v6, v13, v12 :: v_dual_cndmask_b32 v7, v8, v11
	v_cmp_ne_u32_e32 vcc_lo, 0, v5
	v_dual_cndmask_b32 v6, v10, v6 :: v_dual_cndmask_b32 v5, v9, v7
                                        ; implicit-def: $vgpr7
.LBB32_169:
	s_and_not1_saveexec_b32 s2, s3
	s_cbranch_execz .LBB32_171
; %bb.170:
	v_cvt_f32_u32_e32 v5, s38
	s_sub_i32 s3, 0, s38
	s_delay_alu instid0(VALU_DEP_1) | instskip(SKIP_2) | instid1(VALU_DEP_1)
	v_rcp_iflag_f32_e32 v5, v5
	s_waitcnt_depctr 0xfff
	v_mul_f32_e32 v5, 0x4f7ffffe, v5
	v_cvt_u32_f32_e32 v5, v5
	s_delay_alu instid0(VALU_DEP_1) | instskip(NEXT) | instid1(VALU_DEP_1)
	v_mul_lo_u32 v6, s3, v5
	v_mul_hi_u32 v6, v5, v6
	s_delay_alu instid0(VALU_DEP_1) | instskip(NEXT) | instid1(VALU_DEP_1)
	v_add_nc_u32_e32 v5, v5, v6
	v_mul_hi_u32 v5, v7, v5
	s_delay_alu instid0(VALU_DEP_1) | instskip(NEXT) | instid1(VALU_DEP_1)
	v_mul_lo_u32 v6, v5, s38
	v_sub_nc_u32_e32 v6, v7, v6
	v_add_nc_u32_e32 v7, 1, v5
	s_delay_alu instid0(VALU_DEP_2) | instskip(SKIP_1) | instid1(VALU_DEP_2)
	v_subrev_nc_u32_e32 v8, s38, v6
	v_cmp_le_u32_e32 vcc_lo, s38, v6
	v_dual_cndmask_b32 v6, v6, v8 :: v_dual_cndmask_b32 v5, v5, v7
	s_delay_alu instid0(VALU_DEP_1) | instskip(NEXT) | instid1(VALU_DEP_2)
	v_cmp_le_u32_e32 vcc_lo, s38, v6
	v_dual_mov_b32 v6, 0 :: v_dual_add_nc_u32 v7, 1, v5
	s_delay_alu instid0(VALU_DEP_1)
	v_cndmask_b32_e32 v5, v5, v7, vcc_lo
.LBB32_171:
	s_or_b32 exec_lo, exec_lo, s2
	v_add_co_u32 v9, vcc_lo, 0x300, v31
	v_add_co_ci_u32_e32 v10, vcc_lo, 0, v32, vcc_lo
	v_mov_b32_e32 v7, 0
	s_delay_alu instid0(VALU_DEP_2) | instskip(NEXT) | instid1(VALU_DEP_1)
	v_or_b32_e32 v8, s39, v10
	v_cmp_ne_u64_e32 vcc_lo, 0, v[7:8]
                                        ; implicit-def: $vgpr7_vgpr8
	s_and_saveexec_b32 s2, vcc_lo
	s_delay_alu instid0(SALU_CYCLE_1)
	s_xor_b32 s3, exec_lo, s2
	s_cbranch_execz .LBB32_173
; %bb.172:
	v_cvt_f32_u32_e32 v7, s38
	v_cvt_f32_u32_e32 v8, s39
	s_sub_u32 s2, 0, s38
	s_subb_u32 s4, 0, s39
	s_delay_alu instid0(VALU_DEP_1) | instskip(NEXT) | instid1(VALU_DEP_1)
	v_fmamk_f32 v7, v8, 0x4f800000, v7
	v_rcp_f32_e32 v7, v7
	s_waitcnt_depctr 0xfff
	v_mul_f32_e32 v7, 0x5f7ffffc, v7
	s_delay_alu instid0(VALU_DEP_1) | instskip(NEXT) | instid1(VALU_DEP_1)
	v_mul_f32_e32 v8, 0x2f800000, v7
	v_trunc_f32_e32 v8, v8
	s_delay_alu instid0(VALU_DEP_1) | instskip(SKIP_1) | instid1(VALU_DEP_2)
	v_fmamk_f32 v7, v8, 0xcf800000, v7
	v_cvt_u32_f32_e32 v8, v8
	v_cvt_u32_f32_e32 v7, v7
	s_delay_alu instid0(VALU_DEP_2) | instskip(NEXT) | instid1(VALU_DEP_2)
	v_mul_lo_u32 v11, s2, v8
	v_mul_hi_u32 v12, s2, v7
	v_mul_lo_u32 v13, s4, v7
	s_delay_alu instid0(VALU_DEP_2) | instskip(SKIP_1) | instid1(VALU_DEP_2)
	v_add_nc_u32_e32 v11, v12, v11
	v_mul_lo_u32 v12, s2, v7
	v_add_nc_u32_e32 v11, v11, v13
	s_delay_alu instid0(VALU_DEP_2) | instskip(NEXT) | instid1(VALU_DEP_2)
	v_mul_hi_u32 v13, v7, v12
	v_mul_lo_u32 v14, v7, v11
	v_mul_hi_u32 v15, v7, v11
	v_mul_hi_u32 v16, v8, v12
	v_mul_lo_u32 v12, v8, v12
	v_mul_hi_u32 v17, v8, v11
	v_mul_lo_u32 v11, v8, v11
	v_add_co_u32 v13, vcc_lo, v13, v14
	v_add_co_ci_u32_e32 v14, vcc_lo, 0, v15, vcc_lo
	s_delay_alu instid0(VALU_DEP_2) | instskip(NEXT) | instid1(VALU_DEP_2)
	v_add_co_u32 v12, vcc_lo, v13, v12
	v_add_co_ci_u32_e32 v12, vcc_lo, v14, v16, vcc_lo
	v_add_co_ci_u32_e32 v13, vcc_lo, 0, v17, vcc_lo
	s_delay_alu instid0(VALU_DEP_2) | instskip(NEXT) | instid1(VALU_DEP_2)
	v_add_co_u32 v11, vcc_lo, v12, v11
	v_add_co_ci_u32_e32 v12, vcc_lo, 0, v13, vcc_lo
	s_delay_alu instid0(VALU_DEP_2) | instskip(NEXT) | instid1(VALU_DEP_2)
	v_add_co_u32 v7, vcc_lo, v7, v11
	v_add_co_ci_u32_e32 v8, vcc_lo, v8, v12, vcc_lo
	s_delay_alu instid0(VALU_DEP_2) | instskip(SKIP_1) | instid1(VALU_DEP_3)
	v_mul_hi_u32 v11, s2, v7
	v_mul_lo_u32 v13, s4, v7
	v_mul_lo_u32 v12, s2, v8
	s_delay_alu instid0(VALU_DEP_1) | instskip(SKIP_1) | instid1(VALU_DEP_2)
	v_add_nc_u32_e32 v11, v11, v12
	v_mul_lo_u32 v12, s2, v7
	v_add_nc_u32_e32 v11, v11, v13
	s_delay_alu instid0(VALU_DEP_2) | instskip(NEXT) | instid1(VALU_DEP_2)
	v_mul_hi_u32 v13, v7, v12
	v_mul_lo_u32 v14, v7, v11
	v_mul_hi_u32 v15, v7, v11
	v_mul_hi_u32 v16, v8, v12
	v_mul_lo_u32 v12, v8, v12
	v_mul_hi_u32 v17, v8, v11
	v_mul_lo_u32 v11, v8, v11
	v_add_co_u32 v13, vcc_lo, v13, v14
	v_add_co_ci_u32_e32 v14, vcc_lo, 0, v15, vcc_lo
	s_delay_alu instid0(VALU_DEP_2) | instskip(NEXT) | instid1(VALU_DEP_2)
	v_add_co_u32 v12, vcc_lo, v13, v12
	v_add_co_ci_u32_e32 v12, vcc_lo, v14, v16, vcc_lo
	v_add_co_ci_u32_e32 v13, vcc_lo, 0, v17, vcc_lo
	s_delay_alu instid0(VALU_DEP_2) | instskip(NEXT) | instid1(VALU_DEP_2)
	v_add_co_u32 v11, vcc_lo, v12, v11
	v_add_co_ci_u32_e32 v12, vcc_lo, 0, v13, vcc_lo
	s_delay_alu instid0(VALU_DEP_2) | instskip(NEXT) | instid1(VALU_DEP_2)
	v_add_co_u32 v13, vcc_lo, v7, v11
	v_add_co_ci_u32_e32 v15, vcc_lo, v8, v12, vcc_lo
	s_delay_alu instid0(VALU_DEP_2) | instskip(SKIP_1) | instid1(VALU_DEP_3)
	v_mul_hi_u32 v16, v9, v13
	v_mad_u64_u32 v[11:12], null, v10, v13, 0
	v_mad_u64_u32 v[7:8], null, v9, v15, 0
	;; [unrolled: 1-line block ×3, first 2 shown]
	s_delay_alu instid0(VALU_DEP_2) | instskip(NEXT) | instid1(VALU_DEP_3)
	v_add_co_u32 v7, vcc_lo, v16, v7
	v_add_co_ci_u32_e32 v8, vcc_lo, 0, v8, vcc_lo
	s_delay_alu instid0(VALU_DEP_2) | instskip(NEXT) | instid1(VALU_DEP_2)
	v_add_co_u32 v7, vcc_lo, v7, v11
	v_add_co_ci_u32_e32 v7, vcc_lo, v8, v12, vcc_lo
	v_add_co_ci_u32_e32 v8, vcc_lo, 0, v14, vcc_lo
	s_delay_alu instid0(VALU_DEP_2) | instskip(NEXT) | instid1(VALU_DEP_2)
	v_add_co_u32 v11, vcc_lo, v7, v13
	v_add_co_ci_u32_e32 v12, vcc_lo, 0, v8, vcc_lo
	s_delay_alu instid0(VALU_DEP_2) | instskip(SKIP_1) | instid1(VALU_DEP_3)
	v_mul_lo_u32 v13, s39, v11
	v_mad_u64_u32 v[7:8], null, s38, v11, 0
	v_mul_lo_u32 v14, s38, v12
	s_delay_alu instid0(VALU_DEP_2) | instskip(NEXT) | instid1(VALU_DEP_2)
	v_sub_co_u32 v7, vcc_lo, v9, v7
	v_add3_u32 v8, v8, v14, v13
	s_delay_alu instid0(VALU_DEP_1) | instskip(NEXT) | instid1(VALU_DEP_1)
	v_sub_nc_u32_e32 v13, v10, v8
	v_subrev_co_ci_u32_e64 v9, s2, s39, v13, vcc_lo
	v_add_co_u32 v13, s2, v11, 2
	s_delay_alu instid0(VALU_DEP_1) | instskip(SKIP_3) | instid1(VALU_DEP_3)
	v_add_co_ci_u32_e64 v14, s2, 0, v12, s2
	v_sub_co_u32 v15, s2, v7, s38
	v_sub_co_ci_u32_e32 v8, vcc_lo, v10, v8, vcc_lo
	v_subrev_co_ci_u32_e64 v9, s2, 0, v9, s2
	v_cmp_le_u32_e32 vcc_lo, s38, v15
	s_delay_alu instid0(VALU_DEP_3) | instskip(SKIP_1) | instid1(VALU_DEP_4)
	v_cmp_eq_u32_e64 s2, s39, v8
	v_cndmask_b32_e64 v10, 0, -1, vcc_lo
	v_cmp_le_u32_e32 vcc_lo, s39, v9
	v_cndmask_b32_e64 v15, 0, -1, vcc_lo
	v_cmp_le_u32_e32 vcc_lo, s38, v7
	;; [unrolled: 2-line block ×3, first 2 shown]
	v_cndmask_b32_e64 v16, 0, -1, vcc_lo
	v_cmp_eq_u32_e32 vcc_lo, s39, v9
	s_delay_alu instid0(VALU_DEP_2) | instskip(SKIP_3) | instid1(VALU_DEP_3)
	v_cndmask_b32_e64 v7, v16, v7, s2
	v_cndmask_b32_e32 v9, v15, v10, vcc_lo
	v_add_co_u32 v10, vcc_lo, v11, 1
	v_add_co_ci_u32_e32 v15, vcc_lo, 0, v12, vcc_lo
	v_cmp_ne_u32_e32 vcc_lo, 0, v9
	s_delay_alu instid0(VALU_DEP_2) | instskip(SKIP_1) | instid1(VALU_DEP_2)
	v_dual_cndmask_b32 v8, v15, v14 :: v_dual_cndmask_b32 v9, v10, v13
	v_cmp_ne_u32_e32 vcc_lo, 0, v7
	v_dual_cndmask_b32 v8, v12, v8 :: v_dual_cndmask_b32 v7, v11, v9
                                        ; implicit-def: $vgpr9
.LBB32_173:
	s_and_not1_saveexec_b32 s2, s3
	s_cbranch_execz .LBB32_175
; %bb.174:
	v_cvt_f32_u32_e32 v7, s38
	s_sub_i32 s3, 0, s38
	s_delay_alu instid0(VALU_DEP_1) | instskip(SKIP_2) | instid1(VALU_DEP_1)
	v_rcp_iflag_f32_e32 v7, v7
	s_waitcnt_depctr 0xfff
	v_mul_f32_e32 v7, 0x4f7ffffe, v7
	v_cvt_u32_f32_e32 v7, v7
	s_delay_alu instid0(VALU_DEP_1) | instskip(NEXT) | instid1(VALU_DEP_1)
	v_mul_lo_u32 v8, s3, v7
	v_mul_hi_u32 v8, v7, v8
	s_delay_alu instid0(VALU_DEP_1) | instskip(NEXT) | instid1(VALU_DEP_1)
	v_add_nc_u32_e32 v7, v7, v8
	v_mul_hi_u32 v7, v9, v7
	s_delay_alu instid0(VALU_DEP_1) | instskip(NEXT) | instid1(VALU_DEP_1)
	v_mul_lo_u32 v8, v7, s38
	v_sub_nc_u32_e32 v8, v9, v8
	v_add_nc_u32_e32 v9, 1, v7
	s_delay_alu instid0(VALU_DEP_2) | instskip(SKIP_1) | instid1(VALU_DEP_2)
	v_subrev_nc_u32_e32 v10, s38, v8
	v_cmp_le_u32_e32 vcc_lo, s38, v8
	v_dual_cndmask_b32 v8, v8, v10 :: v_dual_cndmask_b32 v7, v7, v9
	s_delay_alu instid0(VALU_DEP_1) | instskip(NEXT) | instid1(VALU_DEP_2)
	v_cmp_le_u32_e32 vcc_lo, s38, v8
	v_dual_mov_b32 v8, 0 :: v_dual_add_nc_u32 v9, 1, v7
	s_delay_alu instid0(VALU_DEP_1)
	v_cndmask_b32_e32 v7, v7, v9, vcc_lo
.LBB32_175:
	s_or_b32 exec_lo, exec_lo, s2
	v_add_co_u32 v11, vcc_lo, 0x400, v31
	v_add_co_ci_u32_e32 v12, vcc_lo, 0, v32, vcc_lo
	v_mov_b32_e32 v9, 0
	s_delay_alu instid0(VALU_DEP_2) | instskip(NEXT) | instid1(VALU_DEP_1)
	v_or_b32_e32 v10, s39, v12
	v_cmp_ne_u64_e32 vcc_lo, 0, v[9:10]
                                        ; implicit-def: $vgpr9_vgpr10
	s_and_saveexec_b32 s2, vcc_lo
	s_delay_alu instid0(SALU_CYCLE_1)
	s_xor_b32 s3, exec_lo, s2
	s_cbranch_execz .LBB32_177
; %bb.176:
	v_cvt_f32_u32_e32 v9, s38
	v_cvt_f32_u32_e32 v10, s39
	s_sub_u32 s2, 0, s38
	s_subb_u32 s4, 0, s39
	s_delay_alu instid0(VALU_DEP_1) | instskip(NEXT) | instid1(VALU_DEP_1)
	v_fmamk_f32 v9, v10, 0x4f800000, v9
	v_rcp_f32_e32 v9, v9
	s_waitcnt_depctr 0xfff
	v_mul_f32_e32 v9, 0x5f7ffffc, v9
	s_delay_alu instid0(VALU_DEP_1) | instskip(NEXT) | instid1(VALU_DEP_1)
	v_mul_f32_e32 v10, 0x2f800000, v9
	v_trunc_f32_e32 v10, v10
	s_delay_alu instid0(VALU_DEP_1) | instskip(SKIP_1) | instid1(VALU_DEP_2)
	v_fmamk_f32 v9, v10, 0xcf800000, v9
	v_cvt_u32_f32_e32 v10, v10
	v_cvt_u32_f32_e32 v9, v9
	s_delay_alu instid0(VALU_DEP_2) | instskip(NEXT) | instid1(VALU_DEP_2)
	v_mul_lo_u32 v13, s2, v10
	v_mul_hi_u32 v14, s2, v9
	v_mul_lo_u32 v15, s4, v9
	s_delay_alu instid0(VALU_DEP_2) | instskip(SKIP_1) | instid1(VALU_DEP_2)
	v_add_nc_u32_e32 v13, v14, v13
	v_mul_lo_u32 v14, s2, v9
	v_add_nc_u32_e32 v13, v13, v15
	s_delay_alu instid0(VALU_DEP_2) | instskip(NEXT) | instid1(VALU_DEP_2)
	v_mul_hi_u32 v15, v9, v14
	v_mul_lo_u32 v16, v9, v13
	v_mul_hi_u32 v17, v9, v13
	v_mul_hi_u32 v18, v10, v14
	v_mul_lo_u32 v14, v10, v14
	v_mul_hi_u32 v19, v10, v13
	v_mul_lo_u32 v13, v10, v13
	v_add_co_u32 v15, vcc_lo, v15, v16
	v_add_co_ci_u32_e32 v16, vcc_lo, 0, v17, vcc_lo
	s_delay_alu instid0(VALU_DEP_2) | instskip(NEXT) | instid1(VALU_DEP_2)
	v_add_co_u32 v14, vcc_lo, v15, v14
	v_add_co_ci_u32_e32 v14, vcc_lo, v16, v18, vcc_lo
	v_add_co_ci_u32_e32 v15, vcc_lo, 0, v19, vcc_lo
	s_delay_alu instid0(VALU_DEP_2) | instskip(NEXT) | instid1(VALU_DEP_2)
	v_add_co_u32 v13, vcc_lo, v14, v13
	v_add_co_ci_u32_e32 v14, vcc_lo, 0, v15, vcc_lo
	s_delay_alu instid0(VALU_DEP_2) | instskip(NEXT) | instid1(VALU_DEP_2)
	v_add_co_u32 v9, vcc_lo, v9, v13
	v_add_co_ci_u32_e32 v10, vcc_lo, v10, v14, vcc_lo
	s_delay_alu instid0(VALU_DEP_2) | instskip(SKIP_1) | instid1(VALU_DEP_3)
	v_mul_hi_u32 v13, s2, v9
	v_mul_lo_u32 v15, s4, v9
	v_mul_lo_u32 v14, s2, v10
	s_delay_alu instid0(VALU_DEP_1) | instskip(SKIP_1) | instid1(VALU_DEP_2)
	v_add_nc_u32_e32 v13, v13, v14
	v_mul_lo_u32 v14, s2, v9
	v_add_nc_u32_e32 v13, v13, v15
	s_delay_alu instid0(VALU_DEP_2) | instskip(NEXT) | instid1(VALU_DEP_2)
	v_mul_hi_u32 v15, v9, v14
	v_mul_lo_u32 v16, v9, v13
	v_mul_hi_u32 v17, v9, v13
	v_mul_hi_u32 v18, v10, v14
	v_mul_lo_u32 v14, v10, v14
	v_mul_hi_u32 v19, v10, v13
	v_mul_lo_u32 v13, v10, v13
	v_add_co_u32 v15, vcc_lo, v15, v16
	v_add_co_ci_u32_e32 v16, vcc_lo, 0, v17, vcc_lo
	s_delay_alu instid0(VALU_DEP_2) | instskip(NEXT) | instid1(VALU_DEP_2)
	v_add_co_u32 v14, vcc_lo, v15, v14
	v_add_co_ci_u32_e32 v14, vcc_lo, v16, v18, vcc_lo
	v_add_co_ci_u32_e32 v15, vcc_lo, 0, v19, vcc_lo
	s_delay_alu instid0(VALU_DEP_2) | instskip(NEXT) | instid1(VALU_DEP_2)
	v_add_co_u32 v13, vcc_lo, v14, v13
	v_add_co_ci_u32_e32 v14, vcc_lo, 0, v15, vcc_lo
	s_delay_alu instid0(VALU_DEP_2) | instskip(NEXT) | instid1(VALU_DEP_2)
	v_add_co_u32 v15, vcc_lo, v9, v13
	v_add_co_ci_u32_e32 v17, vcc_lo, v10, v14, vcc_lo
	s_delay_alu instid0(VALU_DEP_2) | instskip(SKIP_1) | instid1(VALU_DEP_3)
	v_mul_hi_u32 v18, v11, v15
	v_mad_u64_u32 v[13:14], null, v12, v15, 0
	v_mad_u64_u32 v[9:10], null, v11, v17, 0
	;; [unrolled: 1-line block ×3, first 2 shown]
	s_delay_alu instid0(VALU_DEP_2) | instskip(NEXT) | instid1(VALU_DEP_3)
	v_add_co_u32 v9, vcc_lo, v18, v9
	v_add_co_ci_u32_e32 v10, vcc_lo, 0, v10, vcc_lo
	s_delay_alu instid0(VALU_DEP_2) | instskip(NEXT) | instid1(VALU_DEP_2)
	v_add_co_u32 v9, vcc_lo, v9, v13
	v_add_co_ci_u32_e32 v9, vcc_lo, v10, v14, vcc_lo
	v_add_co_ci_u32_e32 v10, vcc_lo, 0, v16, vcc_lo
	s_delay_alu instid0(VALU_DEP_2) | instskip(NEXT) | instid1(VALU_DEP_2)
	v_add_co_u32 v13, vcc_lo, v9, v15
	v_add_co_ci_u32_e32 v14, vcc_lo, 0, v10, vcc_lo
	s_delay_alu instid0(VALU_DEP_2) | instskip(SKIP_1) | instid1(VALU_DEP_3)
	v_mul_lo_u32 v15, s39, v13
	v_mad_u64_u32 v[9:10], null, s38, v13, 0
	v_mul_lo_u32 v16, s38, v14
	s_delay_alu instid0(VALU_DEP_2) | instskip(NEXT) | instid1(VALU_DEP_2)
	v_sub_co_u32 v9, vcc_lo, v11, v9
	v_add3_u32 v10, v10, v16, v15
	s_delay_alu instid0(VALU_DEP_1) | instskip(NEXT) | instid1(VALU_DEP_1)
	v_sub_nc_u32_e32 v15, v12, v10
	v_subrev_co_ci_u32_e64 v11, s2, s39, v15, vcc_lo
	v_add_co_u32 v15, s2, v13, 2
	s_delay_alu instid0(VALU_DEP_1) | instskip(SKIP_3) | instid1(VALU_DEP_3)
	v_add_co_ci_u32_e64 v16, s2, 0, v14, s2
	v_sub_co_u32 v17, s2, v9, s38
	v_sub_co_ci_u32_e32 v10, vcc_lo, v12, v10, vcc_lo
	v_subrev_co_ci_u32_e64 v11, s2, 0, v11, s2
	v_cmp_le_u32_e32 vcc_lo, s38, v17
	s_delay_alu instid0(VALU_DEP_3) | instskip(SKIP_1) | instid1(VALU_DEP_4)
	v_cmp_eq_u32_e64 s2, s39, v10
	v_cndmask_b32_e64 v12, 0, -1, vcc_lo
	v_cmp_le_u32_e32 vcc_lo, s39, v11
	v_cndmask_b32_e64 v17, 0, -1, vcc_lo
	v_cmp_le_u32_e32 vcc_lo, s38, v9
	;; [unrolled: 2-line block ×3, first 2 shown]
	v_cndmask_b32_e64 v18, 0, -1, vcc_lo
	v_cmp_eq_u32_e32 vcc_lo, s39, v11
	s_delay_alu instid0(VALU_DEP_2) | instskip(SKIP_3) | instid1(VALU_DEP_3)
	v_cndmask_b32_e64 v9, v18, v9, s2
	v_cndmask_b32_e32 v11, v17, v12, vcc_lo
	v_add_co_u32 v12, vcc_lo, v13, 1
	v_add_co_ci_u32_e32 v17, vcc_lo, 0, v14, vcc_lo
	v_cmp_ne_u32_e32 vcc_lo, 0, v11
	s_delay_alu instid0(VALU_DEP_2) | instskip(SKIP_1) | instid1(VALU_DEP_2)
	v_dual_cndmask_b32 v10, v17, v16 :: v_dual_cndmask_b32 v11, v12, v15
	v_cmp_ne_u32_e32 vcc_lo, 0, v9
	v_dual_cndmask_b32 v10, v14, v10 :: v_dual_cndmask_b32 v9, v13, v11
                                        ; implicit-def: $vgpr11
.LBB32_177:
	s_and_not1_saveexec_b32 s2, s3
	s_cbranch_execz .LBB32_179
; %bb.178:
	v_cvt_f32_u32_e32 v9, s38
	s_sub_i32 s3, 0, s38
	s_delay_alu instid0(VALU_DEP_1) | instskip(SKIP_2) | instid1(VALU_DEP_1)
	v_rcp_iflag_f32_e32 v9, v9
	s_waitcnt_depctr 0xfff
	v_mul_f32_e32 v9, 0x4f7ffffe, v9
	v_cvt_u32_f32_e32 v9, v9
	s_delay_alu instid0(VALU_DEP_1) | instskip(NEXT) | instid1(VALU_DEP_1)
	v_mul_lo_u32 v10, s3, v9
	v_mul_hi_u32 v10, v9, v10
	s_delay_alu instid0(VALU_DEP_1) | instskip(NEXT) | instid1(VALU_DEP_1)
	v_add_nc_u32_e32 v9, v9, v10
	v_mul_hi_u32 v9, v11, v9
	s_delay_alu instid0(VALU_DEP_1) | instskip(NEXT) | instid1(VALU_DEP_1)
	v_mul_lo_u32 v10, v9, s38
	v_sub_nc_u32_e32 v10, v11, v10
	v_add_nc_u32_e32 v11, 1, v9
	s_delay_alu instid0(VALU_DEP_2) | instskip(SKIP_1) | instid1(VALU_DEP_2)
	v_subrev_nc_u32_e32 v12, s38, v10
	v_cmp_le_u32_e32 vcc_lo, s38, v10
	v_dual_cndmask_b32 v10, v10, v12 :: v_dual_cndmask_b32 v9, v9, v11
	s_delay_alu instid0(VALU_DEP_1) | instskip(NEXT) | instid1(VALU_DEP_2)
	v_cmp_le_u32_e32 vcc_lo, s38, v10
	v_dual_mov_b32 v10, 0 :: v_dual_add_nc_u32 v11, 1, v9
	s_delay_alu instid0(VALU_DEP_1)
	v_cndmask_b32_e32 v9, v9, v11, vcc_lo
.LBB32_179:
	s_or_b32 exec_lo, exec_lo, s2
	v_add_co_u32 v13, vcc_lo, 0x500, v31
	v_add_co_ci_u32_e32 v14, vcc_lo, 0, v32, vcc_lo
	v_mov_b32_e32 v11, 0
	s_delay_alu instid0(VALU_DEP_2) | instskip(NEXT) | instid1(VALU_DEP_1)
	v_or_b32_e32 v12, s39, v14
	v_cmp_ne_u64_e32 vcc_lo, 0, v[11:12]
                                        ; implicit-def: $vgpr11_vgpr12
	s_and_saveexec_b32 s2, vcc_lo
	s_delay_alu instid0(SALU_CYCLE_1)
	s_xor_b32 s3, exec_lo, s2
	s_cbranch_execz .LBB32_181
; %bb.180:
	v_cvt_f32_u32_e32 v11, s38
	v_cvt_f32_u32_e32 v12, s39
	s_sub_u32 s2, 0, s38
	s_subb_u32 s4, 0, s39
	s_delay_alu instid0(VALU_DEP_1) | instskip(NEXT) | instid1(VALU_DEP_1)
	v_fmamk_f32 v11, v12, 0x4f800000, v11
	v_rcp_f32_e32 v11, v11
	s_waitcnt_depctr 0xfff
	v_mul_f32_e32 v11, 0x5f7ffffc, v11
	s_delay_alu instid0(VALU_DEP_1) | instskip(NEXT) | instid1(VALU_DEP_1)
	v_mul_f32_e32 v12, 0x2f800000, v11
	v_trunc_f32_e32 v12, v12
	s_delay_alu instid0(VALU_DEP_1) | instskip(SKIP_1) | instid1(VALU_DEP_2)
	v_fmamk_f32 v11, v12, 0xcf800000, v11
	v_cvt_u32_f32_e32 v12, v12
	v_cvt_u32_f32_e32 v11, v11
	s_delay_alu instid0(VALU_DEP_2) | instskip(NEXT) | instid1(VALU_DEP_2)
	v_mul_lo_u32 v15, s2, v12
	v_mul_hi_u32 v16, s2, v11
	v_mul_lo_u32 v17, s4, v11
	s_delay_alu instid0(VALU_DEP_2) | instskip(SKIP_1) | instid1(VALU_DEP_2)
	v_add_nc_u32_e32 v15, v16, v15
	v_mul_lo_u32 v16, s2, v11
	v_add_nc_u32_e32 v15, v15, v17
	s_delay_alu instid0(VALU_DEP_2) | instskip(NEXT) | instid1(VALU_DEP_2)
	v_mul_hi_u32 v17, v11, v16
	v_mul_lo_u32 v18, v11, v15
	v_mul_hi_u32 v19, v11, v15
	v_mul_hi_u32 v20, v12, v16
	v_mul_lo_u32 v16, v12, v16
	v_mul_hi_u32 v21, v12, v15
	v_mul_lo_u32 v15, v12, v15
	v_add_co_u32 v17, vcc_lo, v17, v18
	v_add_co_ci_u32_e32 v18, vcc_lo, 0, v19, vcc_lo
	s_delay_alu instid0(VALU_DEP_2) | instskip(NEXT) | instid1(VALU_DEP_2)
	v_add_co_u32 v16, vcc_lo, v17, v16
	v_add_co_ci_u32_e32 v16, vcc_lo, v18, v20, vcc_lo
	v_add_co_ci_u32_e32 v17, vcc_lo, 0, v21, vcc_lo
	s_delay_alu instid0(VALU_DEP_2) | instskip(NEXT) | instid1(VALU_DEP_2)
	v_add_co_u32 v15, vcc_lo, v16, v15
	v_add_co_ci_u32_e32 v16, vcc_lo, 0, v17, vcc_lo
	s_delay_alu instid0(VALU_DEP_2) | instskip(NEXT) | instid1(VALU_DEP_2)
	v_add_co_u32 v11, vcc_lo, v11, v15
	v_add_co_ci_u32_e32 v12, vcc_lo, v12, v16, vcc_lo
	s_delay_alu instid0(VALU_DEP_2) | instskip(SKIP_1) | instid1(VALU_DEP_3)
	v_mul_hi_u32 v15, s2, v11
	v_mul_lo_u32 v17, s4, v11
	v_mul_lo_u32 v16, s2, v12
	s_delay_alu instid0(VALU_DEP_1) | instskip(SKIP_1) | instid1(VALU_DEP_2)
	v_add_nc_u32_e32 v15, v15, v16
	v_mul_lo_u32 v16, s2, v11
	v_add_nc_u32_e32 v15, v15, v17
	s_delay_alu instid0(VALU_DEP_2) | instskip(NEXT) | instid1(VALU_DEP_2)
	v_mul_hi_u32 v17, v11, v16
	v_mul_lo_u32 v18, v11, v15
	v_mul_hi_u32 v19, v11, v15
	v_mul_hi_u32 v20, v12, v16
	v_mul_lo_u32 v16, v12, v16
	v_mul_hi_u32 v21, v12, v15
	v_mul_lo_u32 v15, v12, v15
	v_add_co_u32 v17, vcc_lo, v17, v18
	v_add_co_ci_u32_e32 v18, vcc_lo, 0, v19, vcc_lo
	s_delay_alu instid0(VALU_DEP_2) | instskip(NEXT) | instid1(VALU_DEP_2)
	v_add_co_u32 v16, vcc_lo, v17, v16
	v_add_co_ci_u32_e32 v16, vcc_lo, v18, v20, vcc_lo
	v_add_co_ci_u32_e32 v17, vcc_lo, 0, v21, vcc_lo
	s_delay_alu instid0(VALU_DEP_2) | instskip(NEXT) | instid1(VALU_DEP_2)
	v_add_co_u32 v15, vcc_lo, v16, v15
	v_add_co_ci_u32_e32 v16, vcc_lo, 0, v17, vcc_lo
	s_delay_alu instid0(VALU_DEP_2) | instskip(NEXT) | instid1(VALU_DEP_2)
	v_add_co_u32 v17, vcc_lo, v11, v15
	v_add_co_ci_u32_e32 v19, vcc_lo, v12, v16, vcc_lo
	s_delay_alu instid0(VALU_DEP_2) | instskip(SKIP_1) | instid1(VALU_DEP_3)
	v_mul_hi_u32 v20, v13, v17
	v_mad_u64_u32 v[15:16], null, v14, v17, 0
	v_mad_u64_u32 v[11:12], null, v13, v19, 0
	;; [unrolled: 1-line block ×3, first 2 shown]
	s_delay_alu instid0(VALU_DEP_2) | instskip(NEXT) | instid1(VALU_DEP_3)
	v_add_co_u32 v11, vcc_lo, v20, v11
	v_add_co_ci_u32_e32 v12, vcc_lo, 0, v12, vcc_lo
	s_delay_alu instid0(VALU_DEP_2) | instskip(NEXT) | instid1(VALU_DEP_2)
	v_add_co_u32 v11, vcc_lo, v11, v15
	v_add_co_ci_u32_e32 v11, vcc_lo, v12, v16, vcc_lo
	v_add_co_ci_u32_e32 v12, vcc_lo, 0, v18, vcc_lo
	s_delay_alu instid0(VALU_DEP_2) | instskip(NEXT) | instid1(VALU_DEP_2)
	v_add_co_u32 v15, vcc_lo, v11, v17
	v_add_co_ci_u32_e32 v16, vcc_lo, 0, v12, vcc_lo
	s_delay_alu instid0(VALU_DEP_2) | instskip(SKIP_1) | instid1(VALU_DEP_3)
	v_mul_lo_u32 v17, s39, v15
	v_mad_u64_u32 v[11:12], null, s38, v15, 0
	v_mul_lo_u32 v18, s38, v16
	s_delay_alu instid0(VALU_DEP_2) | instskip(NEXT) | instid1(VALU_DEP_2)
	v_sub_co_u32 v11, vcc_lo, v13, v11
	v_add3_u32 v12, v12, v18, v17
	s_delay_alu instid0(VALU_DEP_1) | instskip(NEXT) | instid1(VALU_DEP_1)
	v_sub_nc_u32_e32 v17, v14, v12
	v_subrev_co_ci_u32_e64 v13, s2, s39, v17, vcc_lo
	v_add_co_u32 v17, s2, v15, 2
	s_delay_alu instid0(VALU_DEP_1) | instskip(SKIP_3) | instid1(VALU_DEP_3)
	v_add_co_ci_u32_e64 v18, s2, 0, v16, s2
	v_sub_co_u32 v19, s2, v11, s38
	v_sub_co_ci_u32_e32 v12, vcc_lo, v14, v12, vcc_lo
	v_subrev_co_ci_u32_e64 v13, s2, 0, v13, s2
	v_cmp_le_u32_e32 vcc_lo, s38, v19
	s_delay_alu instid0(VALU_DEP_3) | instskip(SKIP_1) | instid1(VALU_DEP_4)
	v_cmp_eq_u32_e64 s2, s39, v12
	v_cndmask_b32_e64 v14, 0, -1, vcc_lo
	v_cmp_le_u32_e32 vcc_lo, s39, v13
	v_cndmask_b32_e64 v19, 0, -1, vcc_lo
	v_cmp_le_u32_e32 vcc_lo, s38, v11
	;; [unrolled: 2-line block ×3, first 2 shown]
	v_cndmask_b32_e64 v20, 0, -1, vcc_lo
	v_cmp_eq_u32_e32 vcc_lo, s39, v13
	s_delay_alu instid0(VALU_DEP_2) | instskip(SKIP_3) | instid1(VALU_DEP_3)
	v_cndmask_b32_e64 v11, v20, v11, s2
	v_cndmask_b32_e32 v13, v19, v14, vcc_lo
	v_add_co_u32 v14, vcc_lo, v15, 1
	v_add_co_ci_u32_e32 v19, vcc_lo, 0, v16, vcc_lo
	v_cmp_ne_u32_e32 vcc_lo, 0, v13
	s_delay_alu instid0(VALU_DEP_2) | instskip(SKIP_1) | instid1(VALU_DEP_2)
	v_dual_cndmask_b32 v12, v19, v18 :: v_dual_cndmask_b32 v13, v14, v17
	v_cmp_ne_u32_e32 vcc_lo, 0, v11
	v_dual_cndmask_b32 v12, v16, v12 :: v_dual_cndmask_b32 v11, v15, v13
                                        ; implicit-def: $vgpr13
.LBB32_181:
	s_and_not1_saveexec_b32 s2, s3
	s_cbranch_execz .LBB32_183
; %bb.182:
	v_cvt_f32_u32_e32 v11, s38
	s_sub_i32 s3, 0, s38
	s_delay_alu instid0(VALU_DEP_1) | instskip(SKIP_2) | instid1(VALU_DEP_1)
	v_rcp_iflag_f32_e32 v11, v11
	s_waitcnt_depctr 0xfff
	v_mul_f32_e32 v11, 0x4f7ffffe, v11
	v_cvt_u32_f32_e32 v11, v11
	s_delay_alu instid0(VALU_DEP_1) | instskip(NEXT) | instid1(VALU_DEP_1)
	v_mul_lo_u32 v12, s3, v11
	v_mul_hi_u32 v12, v11, v12
	s_delay_alu instid0(VALU_DEP_1) | instskip(NEXT) | instid1(VALU_DEP_1)
	v_add_nc_u32_e32 v11, v11, v12
	v_mul_hi_u32 v11, v13, v11
	s_delay_alu instid0(VALU_DEP_1) | instskip(NEXT) | instid1(VALU_DEP_1)
	v_mul_lo_u32 v12, v11, s38
	v_sub_nc_u32_e32 v12, v13, v12
	v_add_nc_u32_e32 v13, 1, v11
	s_delay_alu instid0(VALU_DEP_2) | instskip(SKIP_1) | instid1(VALU_DEP_2)
	v_subrev_nc_u32_e32 v14, s38, v12
	v_cmp_le_u32_e32 vcc_lo, s38, v12
	v_dual_cndmask_b32 v12, v12, v14 :: v_dual_cndmask_b32 v11, v11, v13
	s_delay_alu instid0(VALU_DEP_1) | instskip(NEXT) | instid1(VALU_DEP_2)
	v_cmp_le_u32_e32 vcc_lo, s38, v12
	v_dual_mov_b32 v12, 0 :: v_dual_add_nc_u32 v13, 1, v11
	s_delay_alu instid0(VALU_DEP_1)
	v_cndmask_b32_e32 v11, v11, v13, vcc_lo
.LBB32_183:
	s_or_b32 exec_lo, exec_lo, s2
	v_add_co_u32 v15, vcc_lo, 0x600, v31
	v_add_co_ci_u32_e32 v16, vcc_lo, 0, v32, vcc_lo
	v_mov_b32_e32 v13, 0
	s_delay_alu instid0(VALU_DEP_2) | instskip(NEXT) | instid1(VALU_DEP_1)
	v_or_b32_e32 v14, s39, v16
	v_cmp_ne_u64_e32 vcc_lo, 0, v[13:14]
                                        ; implicit-def: $vgpr13_vgpr14
	s_and_saveexec_b32 s2, vcc_lo
	s_delay_alu instid0(SALU_CYCLE_1)
	s_xor_b32 s3, exec_lo, s2
	s_cbranch_execz .LBB32_185
; %bb.184:
	v_cvt_f32_u32_e32 v13, s38
	v_cvt_f32_u32_e32 v14, s39
	s_sub_u32 s2, 0, s38
	s_subb_u32 s4, 0, s39
	s_delay_alu instid0(VALU_DEP_1) | instskip(NEXT) | instid1(VALU_DEP_1)
	v_fmamk_f32 v13, v14, 0x4f800000, v13
	v_rcp_f32_e32 v13, v13
	s_waitcnt_depctr 0xfff
	v_mul_f32_e32 v13, 0x5f7ffffc, v13
	s_delay_alu instid0(VALU_DEP_1) | instskip(NEXT) | instid1(VALU_DEP_1)
	v_mul_f32_e32 v14, 0x2f800000, v13
	v_trunc_f32_e32 v14, v14
	s_delay_alu instid0(VALU_DEP_1) | instskip(SKIP_1) | instid1(VALU_DEP_2)
	v_fmamk_f32 v13, v14, 0xcf800000, v13
	v_cvt_u32_f32_e32 v14, v14
	v_cvt_u32_f32_e32 v13, v13
	s_delay_alu instid0(VALU_DEP_2) | instskip(NEXT) | instid1(VALU_DEP_2)
	v_mul_lo_u32 v17, s2, v14
	v_mul_hi_u32 v18, s2, v13
	v_mul_lo_u32 v19, s4, v13
	s_delay_alu instid0(VALU_DEP_2) | instskip(SKIP_1) | instid1(VALU_DEP_2)
	v_add_nc_u32_e32 v17, v18, v17
	v_mul_lo_u32 v18, s2, v13
	v_add_nc_u32_e32 v17, v17, v19
	s_delay_alu instid0(VALU_DEP_2) | instskip(NEXT) | instid1(VALU_DEP_2)
	v_mul_hi_u32 v19, v13, v18
	v_mul_lo_u32 v20, v13, v17
	v_mul_hi_u32 v21, v13, v17
	v_mul_hi_u32 v22, v14, v18
	v_mul_lo_u32 v18, v14, v18
	v_mul_hi_u32 v23, v14, v17
	v_mul_lo_u32 v17, v14, v17
	v_add_co_u32 v19, vcc_lo, v19, v20
	v_add_co_ci_u32_e32 v20, vcc_lo, 0, v21, vcc_lo
	s_delay_alu instid0(VALU_DEP_2) | instskip(NEXT) | instid1(VALU_DEP_2)
	v_add_co_u32 v18, vcc_lo, v19, v18
	v_add_co_ci_u32_e32 v18, vcc_lo, v20, v22, vcc_lo
	v_add_co_ci_u32_e32 v19, vcc_lo, 0, v23, vcc_lo
	s_delay_alu instid0(VALU_DEP_2) | instskip(NEXT) | instid1(VALU_DEP_2)
	v_add_co_u32 v17, vcc_lo, v18, v17
	v_add_co_ci_u32_e32 v18, vcc_lo, 0, v19, vcc_lo
	s_delay_alu instid0(VALU_DEP_2) | instskip(NEXT) | instid1(VALU_DEP_2)
	v_add_co_u32 v13, vcc_lo, v13, v17
	v_add_co_ci_u32_e32 v14, vcc_lo, v14, v18, vcc_lo
	s_delay_alu instid0(VALU_DEP_2) | instskip(SKIP_1) | instid1(VALU_DEP_3)
	v_mul_hi_u32 v17, s2, v13
	v_mul_lo_u32 v19, s4, v13
	v_mul_lo_u32 v18, s2, v14
	s_delay_alu instid0(VALU_DEP_1) | instskip(SKIP_1) | instid1(VALU_DEP_2)
	v_add_nc_u32_e32 v17, v17, v18
	v_mul_lo_u32 v18, s2, v13
	v_add_nc_u32_e32 v17, v17, v19
	s_delay_alu instid0(VALU_DEP_2) | instskip(NEXT) | instid1(VALU_DEP_2)
	v_mul_hi_u32 v19, v13, v18
	v_mul_lo_u32 v20, v13, v17
	v_mul_hi_u32 v21, v13, v17
	v_mul_hi_u32 v22, v14, v18
	v_mul_lo_u32 v18, v14, v18
	v_mul_hi_u32 v23, v14, v17
	v_mul_lo_u32 v17, v14, v17
	v_add_co_u32 v19, vcc_lo, v19, v20
	v_add_co_ci_u32_e32 v20, vcc_lo, 0, v21, vcc_lo
	s_delay_alu instid0(VALU_DEP_2) | instskip(NEXT) | instid1(VALU_DEP_2)
	v_add_co_u32 v18, vcc_lo, v19, v18
	v_add_co_ci_u32_e32 v18, vcc_lo, v20, v22, vcc_lo
	v_add_co_ci_u32_e32 v19, vcc_lo, 0, v23, vcc_lo
	s_delay_alu instid0(VALU_DEP_2) | instskip(NEXT) | instid1(VALU_DEP_2)
	v_add_co_u32 v17, vcc_lo, v18, v17
	v_add_co_ci_u32_e32 v18, vcc_lo, 0, v19, vcc_lo
	s_delay_alu instid0(VALU_DEP_2) | instskip(NEXT) | instid1(VALU_DEP_2)
	v_add_co_u32 v19, vcc_lo, v13, v17
	v_add_co_ci_u32_e32 v21, vcc_lo, v14, v18, vcc_lo
	s_delay_alu instid0(VALU_DEP_2) | instskip(SKIP_1) | instid1(VALU_DEP_3)
	v_mul_hi_u32 v22, v15, v19
	v_mad_u64_u32 v[17:18], null, v16, v19, 0
	v_mad_u64_u32 v[13:14], null, v15, v21, 0
	;; [unrolled: 1-line block ×3, first 2 shown]
	s_delay_alu instid0(VALU_DEP_2) | instskip(NEXT) | instid1(VALU_DEP_3)
	v_add_co_u32 v13, vcc_lo, v22, v13
	v_add_co_ci_u32_e32 v14, vcc_lo, 0, v14, vcc_lo
	s_delay_alu instid0(VALU_DEP_2) | instskip(NEXT) | instid1(VALU_DEP_2)
	v_add_co_u32 v13, vcc_lo, v13, v17
	v_add_co_ci_u32_e32 v13, vcc_lo, v14, v18, vcc_lo
	v_add_co_ci_u32_e32 v14, vcc_lo, 0, v20, vcc_lo
	s_delay_alu instid0(VALU_DEP_2) | instskip(NEXT) | instid1(VALU_DEP_2)
	v_add_co_u32 v17, vcc_lo, v13, v19
	v_add_co_ci_u32_e32 v18, vcc_lo, 0, v14, vcc_lo
	s_delay_alu instid0(VALU_DEP_2) | instskip(SKIP_1) | instid1(VALU_DEP_3)
	v_mul_lo_u32 v19, s39, v17
	v_mad_u64_u32 v[13:14], null, s38, v17, 0
	v_mul_lo_u32 v20, s38, v18
	s_delay_alu instid0(VALU_DEP_2) | instskip(NEXT) | instid1(VALU_DEP_2)
	v_sub_co_u32 v13, vcc_lo, v15, v13
	v_add3_u32 v14, v14, v20, v19
	s_delay_alu instid0(VALU_DEP_1) | instskip(NEXT) | instid1(VALU_DEP_1)
	v_sub_nc_u32_e32 v19, v16, v14
	v_subrev_co_ci_u32_e64 v15, s2, s39, v19, vcc_lo
	v_add_co_u32 v19, s2, v17, 2
	s_delay_alu instid0(VALU_DEP_1) | instskip(SKIP_3) | instid1(VALU_DEP_3)
	v_add_co_ci_u32_e64 v20, s2, 0, v18, s2
	v_sub_co_u32 v21, s2, v13, s38
	v_sub_co_ci_u32_e32 v14, vcc_lo, v16, v14, vcc_lo
	v_subrev_co_ci_u32_e64 v15, s2, 0, v15, s2
	v_cmp_le_u32_e32 vcc_lo, s38, v21
	s_delay_alu instid0(VALU_DEP_3) | instskip(SKIP_1) | instid1(VALU_DEP_4)
	v_cmp_eq_u32_e64 s2, s39, v14
	v_cndmask_b32_e64 v16, 0, -1, vcc_lo
	v_cmp_le_u32_e32 vcc_lo, s39, v15
	v_cndmask_b32_e64 v21, 0, -1, vcc_lo
	v_cmp_le_u32_e32 vcc_lo, s38, v13
	;; [unrolled: 2-line block ×3, first 2 shown]
	v_cndmask_b32_e64 v22, 0, -1, vcc_lo
	v_cmp_eq_u32_e32 vcc_lo, s39, v15
	s_delay_alu instid0(VALU_DEP_2) | instskip(SKIP_3) | instid1(VALU_DEP_3)
	v_cndmask_b32_e64 v13, v22, v13, s2
	v_cndmask_b32_e32 v15, v21, v16, vcc_lo
	v_add_co_u32 v16, vcc_lo, v17, 1
	v_add_co_ci_u32_e32 v21, vcc_lo, 0, v18, vcc_lo
	v_cmp_ne_u32_e32 vcc_lo, 0, v15
	s_delay_alu instid0(VALU_DEP_2) | instskip(SKIP_1) | instid1(VALU_DEP_2)
	v_dual_cndmask_b32 v14, v21, v20 :: v_dual_cndmask_b32 v15, v16, v19
	v_cmp_ne_u32_e32 vcc_lo, 0, v13
	v_dual_cndmask_b32 v14, v18, v14 :: v_dual_cndmask_b32 v13, v17, v15
                                        ; implicit-def: $vgpr15
.LBB32_185:
	s_and_not1_saveexec_b32 s2, s3
	s_cbranch_execz .LBB32_187
; %bb.186:
	v_cvt_f32_u32_e32 v13, s38
	s_sub_i32 s3, 0, s38
	s_delay_alu instid0(VALU_DEP_1) | instskip(SKIP_2) | instid1(VALU_DEP_1)
	v_rcp_iflag_f32_e32 v13, v13
	s_waitcnt_depctr 0xfff
	v_mul_f32_e32 v13, 0x4f7ffffe, v13
	v_cvt_u32_f32_e32 v13, v13
	s_delay_alu instid0(VALU_DEP_1) | instskip(NEXT) | instid1(VALU_DEP_1)
	v_mul_lo_u32 v14, s3, v13
	v_mul_hi_u32 v14, v13, v14
	s_delay_alu instid0(VALU_DEP_1) | instskip(NEXT) | instid1(VALU_DEP_1)
	v_add_nc_u32_e32 v13, v13, v14
	v_mul_hi_u32 v13, v15, v13
	s_delay_alu instid0(VALU_DEP_1) | instskip(NEXT) | instid1(VALU_DEP_1)
	v_mul_lo_u32 v14, v13, s38
	v_sub_nc_u32_e32 v14, v15, v14
	v_add_nc_u32_e32 v15, 1, v13
	s_delay_alu instid0(VALU_DEP_2) | instskip(SKIP_1) | instid1(VALU_DEP_2)
	v_subrev_nc_u32_e32 v16, s38, v14
	v_cmp_le_u32_e32 vcc_lo, s38, v14
	v_dual_cndmask_b32 v14, v14, v16 :: v_dual_cndmask_b32 v13, v13, v15
	s_delay_alu instid0(VALU_DEP_1) | instskip(NEXT) | instid1(VALU_DEP_2)
	v_cmp_le_u32_e32 vcc_lo, s38, v14
	v_dual_mov_b32 v14, 0 :: v_dual_add_nc_u32 v15, 1, v13
	s_delay_alu instid0(VALU_DEP_1)
	v_cndmask_b32_e32 v13, v13, v15, vcc_lo
.LBB32_187:
	s_or_b32 exec_lo, exec_lo, s2
	v_add_co_u32 v17, vcc_lo, 0x700, v31
	v_add_co_ci_u32_e32 v18, vcc_lo, 0, v32, vcc_lo
	v_mov_b32_e32 v15, 0
	s_delay_alu instid0(VALU_DEP_2) | instskip(NEXT) | instid1(VALU_DEP_1)
	v_or_b32_e32 v16, s39, v18
	v_cmp_ne_u64_e32 vcc_lo, 0, v[15:16]
                                        ; implicit-def: $vgpr15_vgpr16
	s_and_saveexec_b32 s2, vcc_lo
	s_delay_alu instid0(SALU_CYCLE_1)
	s_xor_b32 s3, exec_lo, s2
	s_cbranch_execz .LBB32_189
; %bb.188:
	v_cvt_f32_u32_e32 v15, s38
	v_cvt_f32_u32_e32 v16, s39
	s_sub_u32 s2, 0, s38
	s_subb_u32 s4, 0, s39
	s_delay_alu instid0(VALU_DEP_1) | instskip(NEXT) | instid1(VALU_DEP_1)
	v_fmamk_f32 v15, v16, 0x4f800000, v15
	v_rcp_f32_e32 v15, v15
	s_waitcnt_depctr 0xfff
	v_mul_f32_e32 v15, 0x5f7ffffc, v15
	s_delay_alu instid0(VALU_DEP_1) | instskip(NEXT) | instid1(VALU_DEP_1)
	v_mul_f32_e32 v16, 0x2f800000, v15
	v_trunc_f32_e32 v16, v16
	s_delay_alu instid0(VALU_DEP_1) | instskip(SKIP_1) | instid1(VALU_DEP_2)
	v_fmamk_f32 v15, v16, 0xcf800000, v15
	v_cvt_u32_f32_e32 v16, v16
	v_cvt_u32_f32_e32 v15, v15
	s_delay_alu instid0(VALU_DEP_2) | instskip(NEXT) | instid1(VALU_DEP_2)
	v_mul_lo_u32 v19, s2, v16
	v_mul_hi_u32 v20, s2, v15
	v_mul_lo_u32 v21, s4, v15
	s_delay_alu instid0(VALU_DEP_2) | instskip(SKIP_1) | instid1(VALU_DEP_2)
	v_add_nc_u32_e32 v19, v20, v19
	v_mul_lo_u32 v20, s2, v15
	v_add_nc_u32_e32 v19, v19, v21
	s_delay_alu instid0(VALU_DEP_2) | instskip(NEXT) | instid1(VALU_DEP_2)
	v_mul_hi_u32 v21, v15, v20
	v_mul_lo_u32 v22, v15, v19
	v_mul_hi_u32 v23, v15, v19
	v_mul_hi_u32 v24, v16, v20
	v_mul_lo_u32 v20, v16, v20
	v_mul_hi_u32 v25, v16, v19
	v_mul_lo_u32 v19, v16, v19
	v_add_co_u32 v21, vcc_lo, v21, v22
	v_add_co_ci_u32_e32 v22, vcc_lo, 0, v23, vcc_lo
	s_delay_alu instid0(VALU_DEP_2) | instskip(NEXT) | instid1(VALU_DEP_2)
	v_add_co_u32 v20, vcc_lo, v21, v20
	v_add_co_ci_u32_e32 v20, vcc_lo, v22, v24, vcc_lo
	v_add_co_ci_u32_e32 v21, vcc_lo, 0, v25, vcc_lo
	s_delay_alu instid0(VALU_DEP_2) | instskip(NEXT) | instid1(VALU_DEP_2)
	v_add_co_u32 v19, vcc_lo, v20, v19
	v_add_co_ci_u32_e32 v20, vcc_lo, 0, v21, vcc_lo
	s_delay_alu instid0(VALU_DEP_2) | instskip(NEXT) | instid1(VALU_DEP_2)
	v_add_co_u32 v15, vcc_lo, v15, v19
	v_add_co_ci_u32_e32 v16, vcc_lo, v16, v20, vcc_lo
	s_delay_alu instid0(VALU_DEP_2) | instskip(SKIP_1) | instid1(VALU_DEP_3)
	v_mul_hi_u32 v19, s2, v15
	v_mul_lo_u32 v21, s4, v15
	v_mul_lo_u32 v20, s2, v16
	s_delay_alu instid0(VALU_DEP_1) | instskip(SKIP_1) | instid1(VALU_DEP_2)
	v_add_nc_u32_e32 v19, v19, v20
	v_mul_lo_u32 v20, s2, v15
	v_add_nc_u32_e32 v19, v19, v21
	s_delay_alu instid0(VALU_DEP_2) | instskip(NEXT) | instid1(VALU_DEP_2)
	v_mul_hi_u32 v21, v15, v20
	v_mul_lo_u32 v22, v15, v19
	v_mul_hi_u32 v23, v15, v19
	v_mul_hi_u32 v24, v16, v20
	v_mul_lo_u32 v20, v16, v20
	v_mul_hi_u32 v25, v16, v19
	v_mul_lo_u32 v19, v16, v19
	v_add_co_u32 v21, vcc_lo, v21, v22
	v_add_co_ci_u32_e32 v22, vcc_lo, 0, v23, vcc_lo
	s_delay_alu instid0(VALU_DEP_2) | instskip(NEXT) | instid1(VALU_DEP_2)
	v_add_co_u32 v20, vcc_lo, v21, v20
	v_add_co_ci_u32_e32 v20, vcc_lo, v22, v24, vcc_lo
	v_add_co_ci_u32_e32 v21, vcc_lo, 0, v25, vcc_lo
	s_delay_alu instid0(VALU_DEP_2) | instskip(NEXT) | instid1(VALU_DEP_2)
	v_add_co_u32 v19, vcc_lo, v20, v19
	v_add_co_ci_u32_e32 v20, vcc_lo, 0, v21, vcc_lo
	s_delay_alu instid0(VALU_DEP_2) | instskip(NEXT) | instid1(VALU_DEP_2)
	v_add_co_u32 v21, vcc_lo, v15, v19
	v_add_co_ci_u32_e32 v23, vcc_lo, v16, v20, vcc_lo
	s_delay_alu instid0(VALU_DEP_2) | instskip(SKIP_1) | instid1(VALU_DEP_3)
	v_mul_hi_u32 v24, v17, v21
	v_mad_u64_u32 v[19:20], null, v18, v21, 0
	v_mad_u64_u32 v[15:16], null, v17, v23, 0
	;; [unrolled: 1-line block ×3, first 2 shown]
	s_delay_alu instid0(VALU_DEP_2) | instskip(NEXT) | instid1(VALU_DEP_3)
	v_add_co_u32 v15, vcc_lo, v24, v15
	v_add_co_ci_u32_e32 v16, vcc_lo, 0, v16, vcc_lo
	s_delay_alu instid0(VALU_DEP_2) | instskip(NEXT) | instid1(VALU_DEP_2)
	v_add_co_u32 v15, vcc_lo, v15, v19
	v_add_co_ci_u32_e32 v15, vcc_lo, v16, v20, vcc_lo
	v_add_co_ci_u32_e32 v16, vcc_lo, 0, v22, vcc_lo
	s_delay_alu instid0(VALU_DEP_2) | instskip(NEXT) | instid1(VALU_DEP_2)
	v_add_co_u32 v19, vcc_lo, v15, v21
	v_add_co_ci_u32_e32 v20, vcc_lo, 0, v16, vcc_lo
	s_delay_alu instid0(VALU_DEP_2) | instskip(SKIP_1) | instid1(VALU_DEP_3)
	v_mul_lo_u32 v21, s39, v19
	v_mad_u64_u32 v[15:16], null, s38, v19, 0
	v_mul_lo_u32 v22, s38, v20
	s_delay_alu instid0(VALU_DEP_2) | instskip(NEXT) | instid1(VALU_DEP_2)
	v_sub_co_u32 v15, vcc_lo, v17, v15
	v_add3_u32 v16, v16, v22, v21
	s_delay_alu instid0(VALU_DEP_1) | instskip(NEXT) | instid1(VALU_DEP_1)
	v_sub_nc_u32_e32 v21, v18, v16
	v_subrev_co_ci_u32_e64 v17, s2, s39, v21, vcc_lo
	v_add_co_u32 v21, s2, v19, 2
	s_delay_alu instid0(VALU_DEP_1) | instskip(SKIP_3) | instid1(VALU_DEP_3)
	v_add_co_ci_u32_e64 v22, s2, 0, v20, s2
	v_sub_co_u32 v23, s2, v15, s38
	v_sub_co_ci_u32_e32 v16, vcc_lo, v18, v16, vcc_lo
	v_subrev_co_ci_u32_e64 v17, s2, 0, v17, s2
	v_cmp_le_u32_e32 vcc_lo, s38, v23
	s_delay_alu instid0(VALU_DEP_3) | instskip(SKIP_1) | instid1(VALU_DEP_4)
	v_cmp_eq_u32_e64 s2, s39, v16
	v_cndmask_b32_e64 v18, 0, -1, vcc_lo
	v_cmp_le_u32_e32 vcc_lo, s39, v17
	v_cndmask_b32_e64 v23, 0, -1, vcc_lo
	v_cmp_le_u32_e32 vcc_lo, s38, v15
	;; [unrolled: 2-line block ×3, first 2 shown]
	v_cndmask_b32_e64 v24, 0, -1, vcc_lo
	v_cmp_eq_u32_e32 vcc_lo, s39, v17
	s_delay_alu instid0(VALU_DEP_2) | instskip(SKIP_3) | instid1(VALU_DEP_3)
	v_cndmask_b32_e64 v15, v24, v15, s2
	v_cndmask_b32_e32 v17, v23, v18, vcc_lo
	v_add_co_u32 v18, vcc_lo, v19, 1
	v_add_co_ci_u32_e32 v23, vcc_lo, 0, v20, vcc_lo
	v_cmp_ne_u32_e32 vcc_lo, 0, v17
	s_delay_alu instid0(VALU_DEP_2) | instskip(SKIP_1) | instid1(VALU_DEP_2)
	v_dual_cndmask_b32 v16, v23, v22 :: v_dual_cndmask_b32 v17, v18, v21
	v_cmp_ne_u32_e32 vcc_lo, 0, v15
	v_dual_cndmask_b32 v16, v20, v16 :: v_dual_cndmask_b32 v15, v19, v17
                                        ; implicit-def: $vgpr17
.LBB32_189:
	s_and_not1_saveexec_b32 s2, s3
	s_cbranch_execz .LBB32_191
; %bb.190:
	v_cvt_f32_u32_e32 v15, s38
	s_sub_i32 s3, 0, s38
	s_delay_alu instid0(VALU_DEP_1) | instskip(SKIP_2) | instid1(VALU_DEP_1)
	v_rcp_iflag_f32_e32 v15, v15
	s_waitcnt_depctr 0xfff
	v_mul_f32_e32 v15, 0x4f7ffffe, v15
	v_cvt_u32_f32_e32 v15, v15
	s_delay_alu instid0(VALU_DEP_1) | instskip(NEXT) | instid1(VALU_DEP_1)
	v_mul_lo_u32 v16, s3, v15
	v_mul_hi_u32 v16, v15, v16
	s_delay_alu instid0(VALU_DEP_1) | instskip(NEXT) | instid1(VALU_DEP_1)
	v_add_nc_u32_e32 v15, v15, v16
	v_mul_hi_u32 v15, v17, v15
	s_delay_alu instid0(VALU_DEP_1) | instskip(NEXT) | instid1(VALU_DEP_1)
	v_mul_lo_u32 v16, v15, s38
	v_sub_nc_u32_e32 v16, v17, v16
	v_add_nc_u32_e32 v17, 1, v15
	s_delay_alu instid0(VALU_DEP_2) | instskip(SKIP_1) | instid1(VALU_DEP_2)
	v_subrev_nc_u32_e32 v18, s38, v16
	v_cmp_le_u32_e32 vcc_lo, s38, v16
	v_dual_cndmask_b32 v16, v16, v18 :: v_dual_cndmask_b32 v15, v15, v17
	s_delay_alu instid0(VALU_DEP_1) | instskip(NEXT) | instid1(VALU_DEP_2)
	v_cmp_le_u32_e32 vcc_lo, s38, v16
	v_dual_mov_b32 v16, 0 :: v_dual_add_nc_u32 v17, 1, v15
	s_delay_alu instid0(VALU_DEP_1)
	v_cndmask_b32_e32 v15, v15, v17, vcc_lo
.LBB32_191:
	s_or_b32 exec_lo, exec_lo, s2
	v_add_co_u32 v19, vcc_lo, 0x800, v31
	v_add_co_ci_u32_e32 v20, vcc_lo, 0, v32, vcc_lo
	v_mov_b32_e32 v17, 0
	s_delay_alu instid0(VALU_DEP_2) | instskip(NEXT) | instid1(VALU_DEP_1)
	v_or_b32_e32 v18, s39, v20
	v_cmp_ne_u64_e32 vcc_lo, 0, v[17:18]
                                        ; implicit-def: $vgpr17_vgpr18
	s_and_saveexec_b32 s2, vcc_lo
	s_delay_alu instid0(SALU_CYCLE_1)
	s_xor_b32 s3, exec_lo, s2
	s_cbranch_execz .LBB32_193
; %bb.192:
	v_cvt_f32_u32_e32 v17, s38
	v_cvt_f32_u32_e32 v18, s39
	s_sub_u32 s2, 0, s38
	s_subb_u32 s4, 0, s39
	s_delay_alu instid0(VALU_DEP_1) | instskip(NEXT) | instid1(VALU_DEP_1)
	v_fmamk_f32 v17, v18, 0x4f800000, v17
	v_rcp_f32_e32 v17, v17
	s_waitcnt_depctr 0xfff
	v_mul_f32_e32 v17, 0x5f7ffffc, v17
	s_delay_alu instid0(VALU_DEP_1) | instskip(NEXT) | instid1(VALU_DEP_1)
	v_mul_f32_e32 v18, 0x2f800000, v17
	v_trunc_f32_e32 v18, v18
	s_delay_alu instid0(VALU_DEP_1) | instskip(SKIP_1) | instid1(VALU_DEP_2)
	v_fmamk_f32 v17, v18, 0xcf800000, v17
	v_cvt_u32_f32_e32 v18, v18
	v_cvt_u32_f32_e32 v17, v17
	s_delay_alu instid0(VALU_DEP_2) | instskip(NEXT) | instid1(VALU_DEP_2)
	v_mul_lo_u32 v21, s2, v18
	v_mul_hi_u32 v22, s2, v17
	v_mul_lo_u32 v23, s4, v17
	s_delay_alu instid0(VALU_DEP_2) | instskip(SKIP_1) | instid1(VALU_DEP_2)
	v_add_nc_u32_e32 v21, v22, v21
	v_mul_lo_u32 v22, s2, v17
	v_add_nc_u32_e32 v21, v21, v23
	s_delay_alu instid0(VALU_DEP_2) | instskip(NEXT) | instid1(VALU_DEP_2)
	v_mul_hi_u32 v23, v17, v22
	v_mul_lo_u32 v24, v17, v21
	v_mul_hi_u32 v25, v17, v21
	v_mul_hi_u32 v26, v18, v22
	v_mul_lo_u32 v22, v18, v22
	v_mul_hi_u32 v27, v18, v21
	v_mul_lo_u32 v21, v18, v21
	v_add_co_u32 v23, vcc_lo, v23, v24
	v_add_co_ci_u32_e32 v24, vcc_lo, 0, v25, vcc_lo
	s_delay_alu instid0(VALU_DEP_2) | instskip(NEXT) | instid1(VALU_DEP_2)
	v_add_co_u32 v22, vcc_lo, v23, v22
	v_add_co_ci_u32_e32 v22, vcc_lo, v24, v26, vcc_lo
	v_add_co_ci_u32_e32 v23, vcc_lo, 0, v27, vcc_lo
	s_delay_alu instid0(VALU_DEP_2) | instskip(NEXT) | instid1(VALU_DEP_2)
	v_add_co_u32 v21, vcc_lo, v22, v21
	v_add_co_ci_u32_e32 v22, vcc_lo, 0, v23, vcc_lo
	s_delay_alu instid0(VALU_DEP_2) | instskip(NEXT) | instid1(VALU_DEP_2)
	v_add_co_u32 v17, vcc_lo, v17, v21
	v_add_co_ci_u32_e32 v18, vcc_lo, v18, v22, vcc_lo
	s_delay_alu instid0(VALU_DEP_2) | instskip(SKIP_1) | instid1(VALU_DEP_3)
	v_mul_hi_u32 v21, s2, v17
	v_mul_lo_u32 v23, s4, v17
	v_mul_lo_u32 v22, s2, v18
	s_delay_alu instid0(VALU_DEP_1) | instskip(SKIP_1) | instid1(VALU_DEP_2)
	v_add_nc_u32_e32 v21, v21, v22
	v_mul_lo_u32 v22, s2, v17
	v_add_nc_u32_e32 v21, v21, v23
	s_delay_alu instid0(VALU_DEP_2) | instskip(NEXT) | instid1(VALU_DEP_2)
	v_mul_hi_u32 v23, v17, v22
	v_mul_lo_u32 v24, v17, v21
	v_mul_hi_u32 v25, v17, v21
	v_mul_hi_u32 v26, v18, v22
	v_mul_lo_u32 v22, v18, v22
	v_mul_hi_u32 v27, v18, v21
	v_mul_lo_u32 v21, v18, v21
	v_add_co_u32 v23, vcc_lo, v23, v24
	v_add_co_ci_u32_e32 v24, vcc_lo, 0, v25, vcc_lo
	s_delay_alu instid0(VALU_DEP_2) | instskip(NEXT) | instid1(VALU_DEP_2)
	v_add_co_u32 v22, vcc_lo, v23, v22
	v_add_co_ci_u32_e32 v22, vcc_lo, v24, v26, vcc_lo
	v_add_co_ci_u32_e32 v23, vcc_lo, 0, v27, vcc_lo
	s_delay_alu instid0(VALU_DEP_2) | instskip(NEXT) | instid1(VALU_DEP_2)
	v_add_co_u32 v21, vcc_lo, v22, v21
	v_add_co_ci_u32_e32 v22, vcc_lo, 0, v23, vcc_lo
	s_delay_alu instid0(VALU_DEP_2) | instskip(NEXT) | instid1(VALU_DEP_2)
	v_add_co_u32 v23, vcc_lo, v17, v21
	v_add_co_ci_u32_e32 v25, vcc_lo, v18, v22, vcc_lo
	s_delay_alu instid0(VALU_DEP_2) | instskip(SKIP_1) | instid1(VALU_DEP_3)
	v_mul_hi_u32 v26, v19, v23
	v_mad_u64_u32 v[21:22], null, v20, v23, 0
	v_mad_u64_u32 v[17:18], null, v19, v25, 0
	;; [unrolled: 1-line block ×3, first 2 shown]
	s_delay_alu instid0(VALU_DEP_2) | instskip(NEXT) | instid1(VALU_DEP_3)
	v_add_co_u32 v17, vcc_lo, v26, v17
	v_add_co_ci_u32_e32 v18, vcc_lo, 0, v18, vcc_lo
	s_delay_alu instid0(VALU_DEP_2) | instskip(NEXT) | instid1(VALU_DEP_2)
	v_add_co_u32 v17, vcc_lo, v17, v21
	v_add_co_ci_u32_e32 v17, vcc_lo, v18, v22, vcc_lo
	v_add_co_ci_u32_e32 v18, vcc_lo, 0, v24, vcc_lo
	s_delay_alu instid0(VALU_DEP_2) | instskip(NEXT) | instid1(VALU_DEP_2)
	v_add_co_u32 v21, vcc_lo, v17, v23
	v_add_co_ci_u32_e32 v22, vcc_lo, 0, v18, vcc_lo
	s_delay_alu instid0(VALU_DEP_2) | instskip(SKIP_1) | instid1(VALU_DEP_3)
	v_mul_lo_u32 v23, s39, v21
	v_mad_u64_u32 v[17:18], null, s38, v21, 0
	v_mul_lo_u32 v24, s38, v22
	s_delay_alu instid0(VALU_DEP_2) | instskip(NEXT) | instid1(VALU_DEP_2)
	v_sub_co_u32 v17, vcc_lo, v19, v17
	v_add3_u32 v18, v18, v24, v23
	s_delay_alu instid0(VALU_DEP_1) | instskip(NEXT) | instid1(VALU_DEP_1)
	v_sub_nc_u32_e32 v23, v20, v18
	v_subrev_co_ci_u32_e64 v19, s2, s39, v23, vcc_lo
	v_add_co_u32 v23, s2, v21, 2
	s_delay_alu instid0(VALU_DEP_1) | instskip(SKIP_3) | instid1(VALU_DEP_3)
	v_add_co_ci_u32_e64 v24, s2, 0, v22, s2
	v_sub_co_u32 v25, s2, v17, s38
	v_sub_co_ci_u32_e32 v18, vcc_lo, v20, v18, vcc_lo
	v_subrev_co_ci_u32_e64 v19, s2, 0, v19, s2
	v_cmp_le_u32_e32 vcc_lo, s38, v25
	s_delay_alu instid0(VALU_DEP_3) | instskip(SKIP_1) | instid1(VALU_DEP_4)
	v_cmp_eq_u32_e64 s2, s39, v18
	v_cndmask_b32_e64 v20, 0, -1, vcc_lo
	v_cmp_le_u32_e32 vcc_lo, s39, v19
	v_cndmask_b32_e64 v25, 0, -1, vcc_lo
	v_cmp_le_u32_e32 vcc_lo, s38, v17
	;; [unrolled: 2-line block ×3, first 2 shown]
	v_cndmask_b32_e64 v26, 0, -1, vcc_lo
	v_cmp_eq_u32_e32 vcc_lo, s39, v19
	s_delay_alu instid0(VALU_DEP_2) | instskip(SKIP_3) | instid1(VALU_DEP_3)
	v_cndmask_b32_e64 v17, v26, v17, s2
	v_cndmask_b32_e32 v19, v25, v20, vcc_lo
	v_add_co_u32 v20, vcc_lo, v21, 1
	v_add_co_ci_u32_e32 v25, vcc_lo, 0, v22, vcc_lo
	v_cmp_ne_u32_e32 vcc_lo, 0, v19
	s_delay_alu instid0(VALU_DEP_2) | instskip(SKIP_1) | instid1(VALU_DEP_2)
	v_dual_cndmask_b32 v18, v25, v24 :: v_dual_cndmask_b32 v19, v20, v23
	v_cmp_ne_u32_e32 vcc_lo, 0, v17
	v_dual_cndmask_b32 v18, v22, v18 :: v_dual_cndmask_b32 v17, v21, v19
                                        ; implicit-def: $vgpr19
.LBB32_193:
	s_and_not1_saveexec_b32 s2, s3
	s_cbranch_execz .LBB32_195
; %bb.194:
	v_cvt_f32_u32_e32 v17, s38
	s_sub_i32 s3, 0, s38
	s_delay_alu instid0(VALU_DEP_1) | instskip(SKIP_2) | instid1(VALU_DEP_1)
	v_rcp_iflag_f32_e32 v17, v17
	s_waitcnt_depctr 0xfff
	v_mul_f32_e32 v17, 0x4f7ffffe, v17
	v_cvt_u32_f32_e32 v17, v17
	s_delay_alu instid0(VALU_DEP_1) | instskip(NEXT) | instid1(VALU_DEP_1)
	v_mul_lo_u32 v18, s3, v17
	v_mul_hi_u32 v18, v17, v18
	s_delay_alu instid0(VALU_DEP_1) | instskip(NEXT) | instid1(VALU_DEP_1)
	v_add_nc_u32_e32 v17, v17, v18
	v_mul_hi_u32 v17, v19, v17
	s_delay_alu instid0(VALU_DEP_1) | instskip(NEXT) | instid1(VALU_DEP_1)
	v_mul_lo_u32 v18, v17, s38
	v_sub_nc_u32_e32 v18, v19, v18
	v_add_nc_u32_e32 v19, 1, v17
	s_delay_alu instid0(VALU_DEP_2) | instskip(SKIP_1) | instid1(VALU_DEP_2)
	v_subrev_nc_u32_e32 v20, s38, v18
	v_cmp_le_u32_e32 vcc_lo, s38, v18
	v_dual_cndmask_b32 v18, v18, v20 :: v_dual_cndmask_b32 v17, v17, v19
	s_delay_alu instid0(VALU_DEP_1) | instskip(NEXT) | instid1(VALU_DEP_2)
	v_cmp_le_u32_e32 vcc_lo, s38, v18
	v_dual_mov_b32 v18, 0 :: v_dual_add_nc_u32 v19, 1, v17
	s_delay_alu instid0(VALU_DEP_1)
	v_cndmask_b32_e32 v17, v17, v19, vcc_lo
.LBB32_195:
	s_or_b32 exec_lo, exec_lo, s2
	v_add_co_u32 v21, vcc_lo, 0x900, v31
	v_add_co_ci_u32_e32 v22, vcc_lo, 0, v32, vcc_lo
	v_mov_b32_e32 v19, 0
	s_delay_alu instid0(VALU_DEP_2) | instskip(NEXT) | instid1(VALU_DEP_1)
	v_or_b32_e32 v20, s39, v22
	v_cmp_ne_u64_e32 vcc_lo, 0, v[19:20]
                                        ; implicit-def: $vgpr19_vgpr20
	s_and_saveexec_b32 s2, vcc_lo
	s_delay_alu instid0(SALU_CYCLE_1)
	s_xor_b32 s3, exec_lo, s2
	s_cbranch_execz .LBB32_197
; %bb.196:
	v_cvt_f32_u32_e32 v19, s38
	v_cvt_f32_u32_e32 v20, s39
	s_sub_u32 s2, 0, s38
	s_subb_u32 s4, 0, s39
	s_delay_alu instid0(VALU_DEP_1) | instskip(NEXT) | instid1(VALU_DEP_1)
	v_fmamk_f32 v19, v20, 0x4f800000, v19
	v_rcp_f32_e32 v19, v19
	s_waitcnt_depctr 0xfff
	v_mul_f32_e32 v19, 0x5f7ffffc, v19
	s_delay_alu instid0(VALU_DEP_1) | instskip(NEXT) | instid1(VALU_DEP_1)
	v_mul_f32_e32 v20, 0x2f800000, v19
	v_trunc_f32_e32 v20, v20
	s_delay_alu instid0(VALU_DEP_1) | instskip(SKIP_1) | instid1(VALU_DEP_2)
	v_fmamk_f32 v19, v20, 0xcf800000, v19
	v_cvt_u32_f32_e32 v20, v20
	v_cvt_u32_f32_e32 v19, v19
	s_delay_alu instid0(VALU_DEP_2) | instskip(NEXT) | instid1(VALU_DEP_2)
	v_mul_lo_u32 v23, s2, v20
	v_mul_hi_u32 v24, s2, v19
	v_mul_lo_u32 v25, s4, v19
	s_delay_alu instid0(VALU_DEP_2) | instskip(SKIP_1) | instid1(VALU_DEP_2)
	v_add_nc_u32_e32 v23, v24, v23
	v_mul_lo_u32 v24, s2, v19
	v_add_nc_u32_e32 v23, v23, v25
	s_delay_alu instid0(VALU_DEP_2) | instskip(NEXT) | instid1(VALU_DEP_2)
	v_mul_hi_u32 v25, v19, v24
	v_mul_lo_u32 v26, v19, v23
	v_mul_hi_u32 v27, v19, v23
	v_mul_hi_u32 v28, v20, v24
	v_mul_lo_u32 v24, v20, v24
	v_mul_hi_u32 v29, v20, v23
	v_mul_lo_u32 v23, v20, v23
	v_add_co_u32 v25, vcc_lo, v25, v26
	v_add_co_ci_u32_e32 v26, vcc_lo, 0, v27, vcc_lo
	s_delay_alu instid0(VALU_DEP_2) | instskip(NEXT) | instid1(VALU_DEP_2)
	v_add_co_u32 v24, vcc_lo, v25, v24
	v_add_co_ci_u32_e32 v24, vcc_lo, v26, v28, vcc_lo
	v_add_co_ci_u32_e32 v25, vcc_lo, 0, v29, vcc_lo
	s_delay_alu instid0(VALU_DEP_2) | instskip(NEXT) | instid1(VALU_DEP_2)
	v_add_co_u32 v23, vcc_lo, v24, v23
	v_add_co_ci_u32_e32 v24, vcc_lo, 0, v25, vcc_lo
	s_delay_alu instid0(VALU_DEP_2) | instskip(NEXT) | instid1(VALU_DEP_2)
	v_add_co_u32 v19, vcc_lo, v19, v23
	v_add_co_ci_u32_e32 v20, vcc_lo, v20, v24, vcc_lo
	s_delay_alu instid0(VALU_DEP_2) | instskip(SKIP_1) | instid1(VALU_DEP_3)
	v_mul_hi_u32 v23, s2, v19
	v_mul_lo_u32 v25, s4, v19
	v_mul_lo_u32 v24, s2, v20
	s_delay_alu instid0(VALU_DEP_1) | instskip(SKIP_1) | instid1(VALU_DEP_2)
	v_add_nc_u32_e32 v23, v23, v24
	v_mul_lo_u32 v24, s2, v19
	v_add_nc_u32_e32 v23, v23, v25
	s_delay_alu instid0(VALU_DEP_2) | instskip(NEXT) | instid1(VALU_DEP_2)
	v_mul_hi_u32 v25, v19, v24
	v_mul_lo_u32 v26, v19, v23
	v_mul_hi_u32 v27, v19, v23
	v_mul_hi_u32 v28, v20, v24
	v_mul_lo_u32 v24, v20, v24
	v_mul_hi_u32 v29, v20, v23
	v_mul_lo_u32 v23, v20, v23
	v_add_co_u32 v25, vcc_lo, v25, v26
	v_add_co_ci_u32_e32 v26, vcc_lo, 0, v27, vcc_lo
	s_delay_alu instid0(VALU_DEP_2) | instskip(NEXT) | instid1(VALU_DEP_2)
	v_add_co_u32 v24, vcc_lo, v25, v24
	v_add_co_ci_u32_e32 v24, vcc_lo, v26, v28, vcc_lo
	v_add_co_ci_u32_e32 v25, vcc_lo, 0, v29, vcc_lo
	s_delay_alu instid0(VALU_DEP_2) | instskip(NEXT) | instid1(VALU_DEP_2)
	v_add_co_u32 v23, vcc_lo, v24, v23
	v_add_co_ci_u32_e32 v24, vcc_lo, 0, v25, vcc_lo
	s_delay_alu instid0(VALU_DEP_2) | instskip(NEXT) | instid1(VALU_DEP_2)
	v_add_co_u32 v25, vcc_lo, v19, v23
	v_add_co_ci_u32_e32 v27, vcc_lo, v20, v24, vcc_lo
	s_delay_alu instid0(VALU_DEP_2) | instskip(SKIP_1) | instid1(VALU_DEP_3)
	v_mul_hi_u32 v28, v21, v25
	v_mad_u64_u32 v[23:24], null, v22, v25, 0
	v_mad_u64_u32 v[19:20], null, v21, v27, 0
	v_mad_u64_u32 v[25:26], null, v22, v27, 0
	s_delay_alu instid0(VALU_DEP_2) | instskip(NEXT) | instid1(VALU_DEP_3)
	v_add_co_u32 v19, vcc_lo, v28, v19
	v_add_co_ci_u32_e32 v20, vcc_lo, 0, v20, vcc_lo
	s_delay_alu instid0(VALU_DEP_2) | instskip(NEXT) | instid1(VALU_DEP_2)
	v_add_co_u32 v19, vcc_lo, v19, v23
	v_add_co_ci_u32_e32 v19, vcc_lo, v20, v24, vcc_lo
	v_add_co_ci_u32_e32 v20, vcc_lo, 0, v26, vcc_lo
	s_delay_alu instid0(VALU_DEP_2) | instskip(NEXT) | instid1(VALU_DEP_2)
	v_add_co_u32 v23, vcc_lo, v19, v25
	v_add_co_ci_u32_e32 v24, vcc_lo, 0, v20, vcc_lo
	s_delay_alu instid0(VALU_DEP_2) | instskip(SKIP_1) | instid1(VALU_DEP_3)
	v_mul_lo_u32 v25, s39, v23
	v_mad_u64_u32 v[19:20], null, s38, v23, 0
	v_mul_lo_u32 v26, s38, v24
	s_delay_alu instid0(VALU_DEP_2) | instskip(NEXT) | instid1(VALU_DEP_2)
	v_sub_co_u32 v19, vcc_lo, v21, v19
	v_add3_u32 v20, v20, v26, v25
	s_delay_alu instid0(VALU_DEP_1) | instskip(NEXT) | instid1(VALU_DEP_1)
	v_sub_nc_u32_e32 v25, v22, v20
	v_subrev_co_ci_u32_e64 v21, s2, s39, v25, vcc_lo
	v_add_co_u32 v25, s2, v23, 2
	s_delay_alu instid0(VALU_DEP_1) | instskip(SKIP_3) | instid1(VALU_DEP_3)
	v_add_co_ci_u32_e64 v26, s2, 0, v24, s2
	v_sub_co_u32 v27, s2, v19, s38
	v_sub_co_ci_u32_e32 v20, vcc_lo, v22, v20, vcc_lo
	v_subrev_co_ci_u32_e64 v21, s2, 0, v21, s2
	v_cmp_le_u32_e32 vcc_lo, s38, v27
	s_delay_alu instid0(VALU_DEP_3) | instskip(SKIP_1) | instid1(VALU_DEP_4)
	v_cmp_eq_u32_e64 s2, s39, v20
	v_cndmask_b32_e64 v22, 0, -1, vcc_lo
	v_cmp_le_u32_e32 vcc_lo, s39, v21
	v_cndmask_b32_e64 v27, 0, -1, vcc_lo
	v_cmp_le_u32_e32 vcc_lo, s38, v19
	v_cndmask_b32_e64 v19, 0, -1, vcc_lo
	v_cmp_le_u32_e32 vcc_lo, s39, v20
	v_cndmask_b32_e64 v28, 0, -1, vcc_lo
	v_cmp_eq_u32_e32 vcc_lo, s39, v21
	s_delay_alu instid0(VALU_DEP_2) | instskip(SKIP_3) | instid1(VALU_DEP_3)
	v_cndmask_b32_e64 v19, v28, v19, s2
	v_cndmask_b32_e32 v21, v27, v22, vcc_lo
	v_add_co_u32 v22, vcc_lo, v23, 1
	v_add_co_ci_u32_e32 v27, vcc_lo, 0, v24, vcc_lo
	v_cmp_ne_u32_e32 vcc_lo, 0, v21
	s_delay_alu instid0(VALU_DEP_2) | instskip(SKIP_1) | instid1(VALU_DEP_2)
	v_dual_cndmask_b32 v20, v27, v26 :: v_dual_cndmask_b32 v21, v22, v25
	v_cmp_ne_u32_e32 vcc_lo, 0, v19
	v_dual_cndmask_b32 v20, v24, v20 :: v_dual_cndmask_b32 v19, v23, v21
                                        ; implicit-def: $vgpr21
.LBB32_197:
	s_and_not1_saveexec_b32 s2, s3
	s_cbranch_execz .LBB32_199
; %bb.198:
	v_cvt_f32_u32_e32 v19, s38
	s_sub_i32 s3, 0, s38
	s_delay_alu instid0(VALU_DEP_1) | instskip(SKIP_2) | instid1(VALU_DEP_1)
	v_rcp_iflag_f32_e32 v19, v19
	s_waitcnt_depctr 0xfff
	v_mul_f32_e32 v19, 0x4f7ffffe, v19
	v_cvt_u32_f32_e32 v19, v19
	s_delay_alu instid0(VALU_DEP_1) | instskip(NEXT) | instid1(VALU_DEP_1)
	v_mul_lo_u32 v20, s3, v19
	v_mul_hi_u32 v20, v19, v20
	s_delay_alu instid0(VALU_DEP_1) | instskip(NEXT) | instid1(VALU_DEP_1)
	v_add_nc_u32_e32 v19, v19, v20
	v_mul_hi_u32 v19, v21, v19
	s_delay_alu instid0(VALU_DEP_1) | instskip(NEXT) | instid1(VALU_DEP_1)
	v_mul_lo_u32 v20, v19, s38
	v_sub_nc_u32_e32 v20, v21, v20
	v_add_nc_u32_e32 v21, 1, v19
	s_delay_alu instid0(VALU_DEP_2) | instskip(SKIP_1) | instid1(VALU_DEP_2)
	v_subrev_nc_u32_e32 v22, s38, v20
	v_cmp_le_u32_e32 vcc_lo, s38, v20
	v_dual_cndmask_b32 v20, v20, v22 :: v_dual_cndmask_b32 v19, v19, v21
	s_delay_alu instid0(VALU_DEP_1) | instskip(NEXT) | instid1(VALU_DEP_2)
	v_cmp_le_u32_e32 vcc_lo, s38, v20
	v_dual_mov_b32 v20, 0 :: v_dual_add_nc_u32 v21, 1, v19
	s_delay_alu instid0(VALU_DEP_1)
	v_cndmask_b32_e32 v19, v19, v21, vcc_lo
.LBB32_199:
	s_or_b32 exec_lo, exec_lo, s2
	v_add_co_u32 v23, vcc_lo, 0xa00, v31
	v_add_co_ci_u32_e32 v24, vcc_lo, 0, v32, vcc_lo
	v_mov_b32_e32 v21, 0
	s_delay_alu instid0(VALU_DEP_2) | instskip(NEXT) | instid1(VALU_DEP_1)
	v_or_b32_e32 v22, s39, v24
	v_cmp_ne_u64_e32 vcc_lo, 0, v[21:22]
                                        ; implicit-def: $vgpr21_vgpr22
	s_and_saveexec_b32 s2, vcc_lo
	s_delay_alu instid0(SALU_CYCLE_1)
	s_xor_b32 s3, exec_lo, s2
	s_cbranch_execz .LBB32_201
; %bb.200:
	v_cvt_f32_u32_e32 v21, s38
	v_cvt_f32_u32_e32 v22, s39
	s_sub_u32 s2, 0, s38
	s_subb_u32 s4, 0, s39
	s_delay_alu instid0(VALU_DEP_1) | instskip(NEXT) | instid1(VALU_DEP_1)
	v_fmamk_f32 v21, v22, 0x4f800000, v21
	v_rcp_f32_e32 v21, v21
	s_waitcnt_depctr 0xfff
	v_mul_f32_e32 v21, 0x5f7ffffc, v21
	s_delay_alu instid0(VALU_DEP_1) | instskip(NEXT) | instid1(VALU_DEP_1)
	v_mul_f32_e32 v22, 0x2f800000, v21
	v_trunc_f32_e32 v22, v22
	s_delay_alu instid0(VALU_DEP_1) | instskip(SKIP_1) | instid1(VALU_DEP_2)
	v_fmamk_f32 v21, v22, 0xcf800000, v21
	v_cvt_u32_f32_e32 v22, v22
	v_cvt_u32_f32_e32 v21, v21
	s_delay_alu instid0(VALU_DEP_2) | instskip(NEXT) | instid1(VALU_DEP_2)
	v_mul_lo_u32 v25, s2, v22
	v_mul_hi_u32 v26, s2, v21
	v_mul_lo_u32 v27, s4, v21
	s_delay_alu instid0(VALU_DEP_2) | instskip(SKIP_1) | instid1(VALU_DEP_2)
	v_add_nc_u32_e32 v25, v26, v25
	v_mul_lo_u32 v26, s2, v21
	v_add_nc_u32_e32 v25, v25, v27
	s_delay_alu instid0(VALU_DEP_2) | instskip(NEXT) | instid1(VALU_DEP_2)
	v_mul_hi_u32 v27, v21, v26
	v_mul_lo_u32 v28, v21, v25
	v_mul_hi_u32 v29, v21, v25
	v_mul_hi_u32 v30, v22, v26
	v_mul_lo_u32 v26, v22, v26
	v_mul_hi_u32 v33, v22, v25
	v_mul_lo_u32 v25, v22, v25
	v_add_co_u32 v27, vcc_lo, v27, v28
	v_add_co_ci_u32_e32 v28, vcc_lo, 0, v29, vcc_lo
	s_delay_alu instid0(VALU_DEP_2) | instskip(NEXT) | instid1(VALU_DEP_2)
	v_add_co_u32 v26, vcc_lo, v27, v26
	v_add_co_ci_u32_e32 v26, vcc_lo, v28, v30, vcc_lo
	v_add_co_ci_u32_e32 v27, vcc_lo, 0, v33, vcc_lo
	s_delay_alu instid0(VALU_DEP_2) | instskip(NEXT) | instid1(VALU_DEP_2)
	v_add_co_u32 v25, vcc_lo, v26, v25
	v_add_co_ci_u32_e32 v26, vcc_lo, 0, v27, vcc_lo
	s_delay_alu instid0(VALU_DEP_2) | instskip(NEXT) | instid1(VALU_DEP_2)
	v_add_co_u32 v21, vcc_lo, v21, v25
	v_add_co_ci_u32_e32 v22, vcc_lo, v22, v26, vcc_lo
	s_delay_alu instid0(VALU_DEP_2) | instskip(SKIP_1) | instid1(VALU_DEP_3)
	v_mul_hi_u32 v25, s2, v21
	v_mul_lo_u32 v27, s4, v21
	v_mul_lo_u32 v26, s2, v22
	s_delay_alu instid0(VALU_DEP_1) | instskip(SKIP_1) | instid1(VALU_DEP_2)
	v_add_nc_u32_e32 v25, v25, v26
	v_mul_lo_u32 v26, s2, v21
	v_add_nc_u32_e32 v25, v25, v27
	s_delay_alu instid0(VALU_DEP_2) | instskip(NEXT) | instid1(VALU_DEP_2)
	v_mul_hi_u32 v27, v21, v26
	v_mul_lo_u32 v28, v21, v25
	v_mul_hi_u32 v29, v21, v25
	v_mul_hi_u32 v30, v22, v26
	v_mul_lo_u32 v26, v22, v26
	v_mul_hi_u32 v33, v22, v25
	v_mul_lo_u32 v25, v22, v25
	v_add_co_u32 v27, vcc_lo, v27, v28
	v_add_co_ci_u32_e32 v28, vcc_lo, 0, v29, vcc_lo
	s_delay_alu instid0(VALU_DEP_2) | instskip(NEXT) | instid1(VALU_DEP_2)
	v_add_co_u32 v26, vcc_lo, v27, v26
	v_add_co_ci_u32_e32 v26, vcc_lo, v28, v30, vcc_lo
	v_add_co_ci_u32_e32 v27, vcc_lo, 0, v33, vcc_lo
	s_delay_alu instid0(VALU_DEP_2) | instskip(NEXT) | instid1(VALU_DEP_2)
	v_add_co_u32 v25, vcc_lo, v26, v25
	v_add_co_ci_u32_e32 v26, vcc_lo, 0, v27, vcc_lo
	s_delay_alu instid0(VALU_DEP_2) | instskip(NEXT) | instid1(VALU_DEP_2)
	v_add_co_u32 v27, vcc_lo, v21, v25
	v_add_co_ci_u32_e32 v29, vcc_lo, v22, v26, vcc_lo
	s_delay_alu instid0(VALU_DEP_2) | instskip(SKIP_1) | instid1(VALU_DEP_3)
	v_mul_hi_u32 v30, v23, v27
	v_mad_u64_u32 v[25:26], null, v24, v27, 0
	v_mad_u64_u32 v[21:22], null, v23, v29, 0
	;; [unrolled: 1-line block ×3, first 2 shown]
	s_delay_alu instid0(VALU_DEP_2) | instskip(NEXT) | instid1(VALU_DEP_3)
	v_add_co_u32 v21, vcc_lo, v30, v21
	v_add_co_ci_u32_e32 v22, vcc_lo, 0, v22, vcc_lo
	s_delay_alu instid0(VALU_DEP_2) | instskip(NEXT) | instid1(VALU_DEP_2)
	v_add_co_u32 v21, vcc_lo, v21, v25
	v_add_co_ci_u32_e32 v21, vcc_lo, v22, v26, vcc_lo
	v_add_co_ci_u32_e32 v22, vcc_lo, 0, v28, vcc_lo
	s_delay_alu instid0(VALU_DEP_2) | instskip(NEXT) | instid1(VALU_DEP_2)
	v_add_co_u32 v25, vcc_lo, v21, v27
	v_add_co_ci_u32_e32 v26, vcc_lo, 0, v22, vcc_lo
	s_delay_alu instid0(VALU_DEP_2) | instskip(SKIP_1) | instid1(VALU_DEP_3)
	v_mul_lo_u32 v27, s39, v25
	v_mad_u64_u32 v[21:22], null, s38, v25, 0
	v_mul_lo_u32 v28, s38, v26
	s_delay_alu instid0(VALU_DEP_2) | instskip(NEXT) | instid1(VALU_DEP_2)
	v_sub_co_u32 v21, vcc_lo, v23, v21
	v_add3_u32 v22, v22, v28, v27
	s_delay_alu instid0(VALU_DEP_1) | instskip(NEXT) | instid1(VALU_DEP_1)
	v_sub_nc_u32_e32 v27, v24, v22
	v_subrev_co_ci_u32_e64 v23, s2, s39, v27, vcc_lo
	v_add_co_u32 v27, s2, v25, 2
	s_delay_alu instid0(VALU_DEP_1) | instskip(SKIP_3) | instid1(VALU_DEP_3)
	v_add_co_ci_u32_e64 v28, s2, 0, v26, s2
	v_sub_co_u32 v29, s2, v21, s38
	v_sub_co_ci_u32_e32 v22, vcc_lo, v24, v22, vcc_lo
	v_subrev_co_ci_u32_e64 v23, s2, 0, v23, s2
	v_cmp_le_u32_e32 vcc_lo, s38, v29
	s_delay_alu instid0(VALU_DEP_3) | instskip(SKIP_1) | instid1(VALU_DEP_4)
	v_cmp_eq_u32_e64 s2, s39, v22
	v_cndmask_b32_e64 v24, 0, -1, vcc_lo
	v_cmp_le_u32_e32 vcc_lo, s39, v23
	v_cndmask_b32_e64 v29, 0, -1, vcc_lo
	v_cmp_le_u32_e32 vcc_lo, s38, v21
	;; [unrolled: 2-line block ×3, first 2 shown]
	v_cndmask_b32_e64 v30, 0, -1, vcc_lo
	v_cmp_eq_u32_e32 vcc_lo, s39, v23
	s_delay_alu instid0(VALU_DEP_2) | instskip(SKIP_3) | instid1(VALU_DEP_3)
	v_cndmask_b32_e64 v21, v30, v21, s2
	v_cndmask_b32_e32 v23, v29, v24, vcc_lo
	v_add_co_u32 v24, vcc_lo, v25, 1
	v_add_co_ci_u32_e32 v29, vcc_lo, 0, v26, vcc_lo
	v_cmp_ne_u32_e32 vcc_lo, 0, v23
	s_delay_alu instid0(VALU_DEP_2) | instskip(SKIP_1) | instid1(VALU_DEP_2)
	v_dual_cndmask_b32 v22, v29, v28 :: v_dual_cndmask_b32 v23, v24, v27
	v_cmp_ne_u32_e32 vcc_lo, 0, v21
	v_dual_cndmask_b32 v22, v26, v22 :: v_dual_cndmask_b32 v21, v25, v23
                                        ; implicit-def: $vgpr23
.LBB32_201:
	s_and_not1_saveexec_b32 s2, s3
	s_cbranch_execz .LBB32_203
; %bb.202:
	v_cvt_f32_u32_e32 v21, s38
	s_sub_i32 s3, 0, s38
	s_delay_alu instid0(VALU_DEP_1) | instskip(SKIP_2) | instid1(VALU_DEP_1)
	v_rcp_iflag_f32_e32 v21, v21
	s_waitcnt_depctr 0xfff
	v_mul_f32_e32 v21, 0x4f7ffffe, v21
	v_cvt_u32_f32_e32 v21, v21
	s_delay_alu instid0(VALU_DEP_1) | instskip(NEXT) | instid1(VALU_DEP_1)
	v_mul_lo_u32 v22, s3, v21
	v_mul_hi_u32 v22, v21, v22
	s_delay_alu instid0(VALU_DEP_1) | instskip(NEXT) | instid1(VALU_DEP_1)
	v_add_nc_u32_e32 v21, v21, v22
	v_mul_hi_u32 v21, v23, v21
	s_delay_alu instid0(VALU_DEP_1) | instskip(NEXT) | instid1(VALU_DEP_1)
	v_mul_lo_u32 v22, v21, s38
	v_sub_nc_u32_e32 v22, v23, v22
	v_add_nc_u32_e32 v23, 1, v21
	s_delay_alu instid0(VALU_DEP_2) | instskip(SKIP_1) | instid1(VALU_DEP_2)
	v_subrev_nc_u32_e32 v24, s38, v22
	v_cmp_le_u32_e32 vcc_lo, s38, v22
	v_dual_cndmask_b32 v22, v22, v24 :: v_dual_cndmask_b32 v21, v21, v23
	s_delay_alu instid0(VALU_DEP_1) | instskip(NEXT) | instid1(VALU_DEP_2)
	v_cmp_le_u32_e32 vcc_lo, s38, v22
	v_dual_mov_b32 v22, 0 :: v_dual_add_nc_u32 v23, 1, v21
	s_delay_alu instid0(VALU_DEP_1)
	v_cndmask_b32_e32 v21, v21, v23, vcc_lo
.LBB32_203:
	s_or_b32 exec_lo, exec_lo, s2
	v_add_co_u32 v25, vcc_lo, 0xb00, v31
	v_add_co_ci_u32_e32 v26, vcc_lo, 0, v32, vcc_lo
	v_mov_b32_e32 v23, 0
	s_delay_alu instid0(VALU_DEP_2) | instskip(NEXT) | instid1(VALU_DEP_1)
	v_or_b32_e32 v24, s39, v26
	v_cmp_ne_u64_e32 vcc_lo, 0, v[23:24]
                                        ; implicit-def: $vgpr23_vgpr24
	s_and_saveexec_b32 s2, vcc_lo
	s_delay_alu instid0(SALU_CYCLE_1)
	s_xor_b32 s3, exec_lo, s2
	s_cbranch_execz .LBB32_205
; %bb.204:
	v_cvt_f32_u32_e32 v23, s38
	v_cvt_f32_u32_e32 v24, s39
	s_sub_u32 s2, 0, s38
	s_subb_u32 s4, 0, s39
	s_delay_alu instid0(VALU_DEP_1) | instskip(NEXT) | instid1(VALU_DEP_1)
	v_fmamk_f32 v23, v24, 0x4f800000, v23
	v_rcp_f32_e32 v23, v23
	s_waitcnt_depctr 0xfff
	v_mul_f32_e32 v23, 0x5f7ffffc, v23
	s_delay_alu instid0(VALU_DEP_1) | instskip(NEXT) | instid1(VALU_DEP_1)
	v_mul_f32_e32 v24, 0x2f800000, v23
	v_trunc_f32_e32 v24, v24
	s_delay_alu instid0(VALU_DEP_1) | instskip(SKIP_1) | instid1(VALU_DEP_2)
	v_fmamk_f32 v23, v24, 0xcf800000, v23
	v_cvt_u32_f32_e32 v24, v24
	v_cvt_u32_f32_e32 v23, v23
	s_delay_alu instid0(VALU_DEP_2) | instskip(NEXT) | instid1(VALU_DEP_2)
	v_mul_lo_u32 v27, s2, v24
	v_mul_hi_u32 v28, s2, v23
	v_mul_lo_u32 v29, s4, v23
	s_delay_alu instid0(VALU_DEP_2) | instskip(SKIP_1) | instid1(VALU_DEP_2)
	v_add_nc_u32_e32 v27, v28, v27
	v_mul_lo_u32 v28, s2, v23
	v_add_nc_u32_e32 v27, v27, v29
	s_delay_alu instid0(VALU_DEP_2) | instskip(NEXT) | instid1(VALU_DEP_2)
	v_mul_hi_u32 v29, v23, v28
	v_mul_lo_u32 v30, v23, v27
	v_mul_hi_u32 v33, v23, v27
	v_mul_hi_u32 v34, v24, v28
	v_mul_lo_u32 v28, v24, v28
	s_waitcnt lgkmcnt(0)
	v_mul_hi_u32 v35, v24, v27
	v_mul_lo_u32 v27, v24, v27
	v_add_co_u32 v29, vcc_lo, v29, v30
	v_add_co_ci_u32_e32 v30, vcc_lo, 0, v33, vcc_lo
	s_delay_alu instid0(VALU_DEP_2) | instskip(NEXT) | instid1(VALU_DEP_2)
	v_add_co_u32 v28, vcc_lo, v29, v28
	v_add_co_ci_u32_e32 v28, vcc_lo, v30, v34, vcc_lo
	v_add_co_ci_u32_e32 v29, vcc_lo, 0, v35, vcc_lo
	s_delay_alu instid0(VALU_DEP_2) | instskip(NEXT) | instid1(VALU_DEP_2)
	v_add_co_u32 v27, vcc_lo, v28, v27
	v_add_co_ci_u32_e32 v28, vcc_lo, 0, v29, vcc_lo
	s_delay_alu instid0(VALU_DEP_2) | instskip(NEXT) | instid1(VALU_DEP_2)
	v_add_co_u32 v23, vcc_lo, v23, v27
	v_add_co_ci_u32_e32 v24, vcc_lo, v24, v28, vcc_lo
	s_delay_alu instid0(VALU_DEP_2) | instskip(SKIP_1) | instid1(VALU_DEP_3)
	v_mul_hi_u32 v27, s2, v23
	v_mul_lo_u32 v29, s4, v23
	v_mul_lo_u32 v28, s2, v24
	s_delay_alu instid0(VALU_DEP_1) | instskip(SKIP_1) | instid1(VALU_DEP_2)
	v_add_nc_u32_e32 v27, v27, v28
	v_mul_lo_u32 v28, s2, v23
	v_add_nc_u32_e32 v27, v27, v29
	s_delay_alu instid0(VALU_DEP_2) | instskip(NEXT) | instid1(VALU_DEP_2)
	v_mul_hi_u32 v29, v23, v28
	v_mul_lo_u32 v30, v23, v27
	v_mul_hi_u32 v33, v23, v27
	v_mul_hi_u32 v34, v24, v28
	v_mul_lo_u32 v28, v24, v28
	v_mul_hi_u32 v35, v24, v27
	v_mul_lo_u32 v27, v24, v27
	v_add_co_u32 v29, vcc_lo, v29, v30
	v_add_co_ci_u32_e32 v30, vcc_lo, 0, v33, vcc_lo
	s_delay_alu instid0(VALU_DEP_2) | instskip(NEXT) | instid1(VALU_DEP_2)
	v_add_co_u32 v28, vcc_lo, v29, v28
	v_add_co_ci_u32_e32 v28, vcc_lo, v30, v34, vcc_lo
	v_add_co_ci_u32_e32 v29, vcc_lo, 0, v35, vcc_lo
	s_delay_alu instid0(VALU_DEP_2) | instskip(NEXT) | instid1(VALU_DEP_2)
	v_add_co_u32 v27, vcc_lo, v28, v27
	v_add_co_ci_u32_e32 v28, vcc_lo, 0, v29, vcc_lo
	s_delay_alu instid0(VALU_DEP_2) | instskip(NEXT) | instid1(VALU_DEP_2)
	v_add_co_u32 v29, vcc_lo, v23, v27
	v_add_co_ci_u32_e32 v33, vcc_lo, v24, v28, vcc_lo
	s_delay_alu instid0(VALU_DEP_2) | instskip(SKIP_1) | instid1(VALU_DEP_3)
	v_mul_hi_u32 v34, v25, v29
	v_mad_u64_u32 v[27:28], null, v26, v29, 0
	v_mad_u64_u32 v[23:24], null, v25, v33, 0
	;; [unrolled: 1-line block ×3, first 2 shown]
	s_delay_alu instid0(VALU_DEP_2) | instskip(NEXT) | instid1(VALU_DEP_3)
	v_add_co_u32 v23, vcc_lo, v34, v23
	v_add_co_ci_u32_e32 v24, vcc_lo, 0, v24, vcc_lo
	s_delay_alu instid0(VALU_DEP_2) | instskip(NEXT) | instid1(VALU_DEP_2)
	v_add_co_u32 v23, vcc_lo, v23, v27
	v_add_co_ci_u32_e32 v23, vcc_lo, v24, v28, vcc_lo
	v_add_co_ci_u32_e32 v24, vcc_lo, 0, v30, vcc_lo
	s_delay_alu instid0(VALU_DEP_2) | instskip(NEXT) | instid1(VALU_DEP_2)
	v_add_co_u32 v27, vcc_lo, v23, v29
	v_add_co_ci_u32_e32 v28, vcc_lo, 0, v24, vcc_lo
	s_delay_alu instid0(VALU_DEP_2) | instskip(SKIP_1) | instid1(VALU_DEP_3)
	v_mul_lo_u32 v29, s39, v27
	v_mad_u64_u32 v[23:24], null, s38, v27, 0
	v_mul_lo_u32 v30, s38, v28
	s_delay_alu instid0(VALU_DEP_2) | instskip(NEXT) | instid1(VALU_DEP_2)
	v_sub_co_u32 v23, vcc_lo, v25, v23
	v_add3_u32 v24, v24, v30, v29
	s_delay_alu instid0(VALU_DEP_1) | instskip(NEXT) | instid1(VALU_DEP_1)
	v_sub_nc_u32_e32 v29, v26, v24
	v_subrev_co_ci_u32_e64 v25, s2, s39, v29, vcc_lo
	v_add_co_u32 v29, s2, v27, 2
	s_delay_alu instid0(VALU_DEP_1) | instskip(SKIP_3) | instid1(VALU_DEP_3)
	v_add_co_ci_u32_e64 v30, s2, 0, v28, s2
	v_sub_co_u32 v33, s2, v23, s38
	v_sub_co_ci_u32_e32 v24, vcc_lo, v26, v24, vcc_lo
	v_subrev_co_ci_u32_e64 v25, s2, 0, v25, s2
	v_cmp_le_u32_e32 vcc_lo, s38, v33
	s_delay_alu instid0(VALU_DEP_3) | instskip(SKIP_1) | instid1(VALU_DEP_4)
	v_cmp_eq_u32_e64 s2, s39, v24
	v_cndmask_b32_e64 v26, 0, -1, vcc_lo
	v_cmp_le_u32_e32 vcc_lo, s39, v25
	v_cndmask_b32_e64 v33, 0, -1, vcc_lo
	v_cmp_le_u32_e32 vcc_lo, s38, v23
	;; [unrolled: 2-line block ×3, first 2 shown]
	v_cndmask_b32_e64 v34, 0, -1, vcc_lo
	v_cmp_eq_u32_e32 vcc_lo, s39, v25
	s_delay_alu instid0(VALU_DEP_2) | instskip(SKIP_3) | instid1(VALU_DEP_3)
	v_cndmask_b32_e64 v23, v34, v23, s2
	v_cndmask_b32_e32 v25, v33, v26, vcc_lo
	v_add_co_u32 v26, vcc_lo, v27, 1
	v_add_co_ci_u32_e32 v33, vcc_lo, 0, v28, vcc_lo
	v_cmp_ne_u32_e32 vcc_lo, 0, v25
	s_delay_alu instid0(VALU_DEP_2) | instskip(SKIP_1) | instid1(VALU_DEP_2)
	v_dual_cndmask_b32 v24, v33, v30 :: v_dual_cndmask_b32 v25, v26, v29
	v_cmp_ne_u32_e32 vcc_lo, 0, v23
	v_dual_cndmask_b32 v24, v28, v24 :: v_dual_cndmask_b32 v23, v27, v25
                                        ; implicit-def: $vgpr25
.LBB32_205:
	s_and_not1_saveexec_b32 s2, s3
	s_cbranch_execz .LBB32_207
; %bb.206:
	v_cvt_f32_u32_e32 v23, s38
	s_sub_i32 s3, 0, s38
	s_delay_alu instid0(VALU_DEP_1) | instskip(SKIP_2) | instid1(VALU_DEP_1)
	v_rcp_iflag_f32_e32 v23, v23
	s_waitcnt_depctr 0xfff
	v_mul_f32_e32 v23, 0x4f7ffffe, v23
	v_cvt_u32_f32_e32 v23, v23
	s_delay_alu instid0(VALU_DEP_1) | instskip(NEXT) | instid1(VALU_DEP_1)
	v_mul_lo_u32 v24, s3, v23
	v_mul_hi_u32 v24, v23, v24
	s_delay_alu instid0(VALU_DEP_1) | instskip(NEXT) | instid1(VALU_DEP_1)
	v_add_nc_u32_e32 v23, v23, v24
	v_mul_hi_u32 v23, v25, v23
	s_delay_alu instid0(VALU_DEP_1) | instskip(NEXT) | instid1(VALU_DEP_1)
	v_mul_lo_u32 v24, v23, s38
	v_sub_nc_u32_e32 v24, v25, v24
	v_add_nc_u32_e32 v25, 1, v23
	s_delay_alu instid0(VALU_DEP_2) | instskip(SKIP_1) | instid1(VALU_DEP_2)
	v_subrev_nc_u32_e32 v26, s38, v24
	v_cmp_le_u32_e32 vcc_lo, s38, v24
	v_dual_cndmask_b32 v24, v24, v26 :: v_dual_cndmask_b32 v23, v23, v25
	s_delay_alu instid0(VALU_DEP_1) | instskip(NEXT) | instid1(VALU_DEP_2)
	v_cmp_le_u32_e32 vcc_lo, s38, v24
	v_dual_mov_b32 v24, 0 :: v_dual_add_nc_u32 v25, 1, v23
	s_delay_alu instid0(VALU_DEP_1)
	v_cndmask_b32_e32 v23, v23, v25, vcc_lo
.LBB32_207:
	s_or_b32 exec_lo, exec_lo, s2
	v_add_co_u32 v27, vcc_lo, 0xc00, v31
	v_add_co_ci_u32_e32 v28, vcc_lo, 0, v32, vcc_lo
	v_mov_b32_e32 v25, 0
	s_delay_alu instid0(VALU_DEP_2) | instskip(NEXT) | instid1(VALU_DEP_1)
	v_or_b32_e32 v26, s39, v28
	v_cmp_ne_u64_e32 vcc_lo, 0, v[25:26]
                                        ; implicit-def: $vgpr25_vgpr26
	s_and_saveexec_b32 s2, vcc_lo
	s_delay_alu instid0(SALU_CYCLE_1)
	s_xor_b32 s3, exec_lo, s2
	s_cbranch_execz .LBB32_209
; %bb.208:
	v_cvt_f32_u32_e32 v25, s38
	v_cvt_f32_u32_e32 v26, s39
	s_sub_u32 s2, 0, s38
	s_subb_u32 s4, 0, s39
	s_delay_alu instid0(VALU_DEP_1) | instskip(NEXT) | instid1(VALU_DEP_1)
	v_fmamk_f32 v25, v26, 0x4f800000, v25
	v_rcp_f32_e32 v25, v25
	s_waitcnt_depctr 0xfff
	v_mul_f32_e32 v25, 0x5f7ffffc, v25
	s_delay_alu instid0(VALU_DEP_1) | instskip(NEXT) | instid1(VALU_DEP_1)
	v_mul_f32_e32 v26, 0x2f800000, v25
	v_trunc_f32_e32 v26, v26
	s_delay_alu instid0(VALU_DEP_1) | instskip(SKIP_1) | instid1(VALU_DEP_2)
	v_fmamk_f32 v25, v26, 0xcf800000, v25
	v_cvt_u32_f32_e32 v26, v26
	v_cvt_u32_f32_e32 v25, v25
	s_delay_alu instid0(VALU_DEP_2) | instskip(NEXT) | instid1(VALU_DEP_2)
	v_mul_lo_u32 v29, s2, v26
	v_mul_hi_u32 v30, s2, v25
	v_mul_lo_u32 v33, s4, v25
	s_delay_alu instid0(VALU_DEP_2) | instskip(SKIP_1) | instid1(VALU_DEP_2)
	v_add_nc_u32_e32 v29, v30, v29
	v_mul_lo_u32 v30, s2, v25
	v_add_nc_u32_e32 v29, v29, v33
	s_delay_alu instid0(VALU_DEP_2) | instskip(NEXT) | instid1(VALU_DEP_2)
	v_mul_hi_u32 v33, v25, v30
	v_mul_lo_u32 v34, v25, v29
	s_waitcnt lgkmcnt(0)
	v_mul_hi_u32 v35, v25, v29
	v_mul_hi_u32 v36, v26, v30
	v_mul_lo_u32 v30, v26, v30
	v_mul_hi_u32 v37, v26, v29
	v_mul_lo_u32 v29, v26, v29
	v_add_co_u32 v33, vcc_lo, v33, v34
	v_add_co_ci_u32_e32 v34, vcc_lo, 0, v35, vcc_lo
	s_delay_alu instid0(VALU_DEP_2) | instskip(NEXT) | instid1(VALU_DEP_2)
	v_add_co_u32 v30, vcc_lo, v33, v30
	v_add_co_ci_u32_e32 v30, vcc_lo, v34, v36, vcc_lo
	v_add_co_ci_u32_e32 v33, vcc_lo, 0, v37, vcc_lo
	s_delay_alu instid0(VALU_DEP_2) | instskip(NEXT) | instid1(VALU_DEP_2)
	v_add_co_u32 v29, vcc_lo, v30, v29
	v_add_co_ci_u32_e32 v30, vcc_lo, 0, v33, vcc_lo
	s_delay_alu instid0(VALU_DEP_2) | instskip(NEXT) | instid1(VALU_DEP_2)
	v_add_co_u32 v25, vcc_lo, v25, v29
	v_add_co_ci_u32_e32 v26, vcc_lo, v26, v30, vcc_lo
	s_delay_alu instid0(VALU_DEP_2) | instskip(SKIP_1) | instid1(VALU_DEP_3)
	v_mul_hi_u32 v29, s2, v25
	v_mul_lo_u32 v33, s4, v25
	v_mul_lo_u32 v30, s2, v26
	s_delay_alu instid0(VALU_DEP_1) | instskip(SKIP_1) | instid1(VALU_DEP_2)
	v_add_nc_u32_e32 v29, v29, v30
	v_mul_lo_u32 v30, s2, v25
	v_add_nc_u32_e32 v29, v29, v33
	s_delay_alu instid0(VALU_DEP_2) | instskip(NEXT) | instid1(VALU_DEP_2)
	v_mul_hi_u32 v33, v25, v30
	v_mul_lo_u32 v34, v25, v29
	v_mul_hi_u32 v35, v25, v29
	v_mul_hi_u32 v36, v26, v30
	v_mul_lo_u32 v30, v26, v30
	v_mul_hi_u32 v37, v26, v29
	v_mul_lo_u32 v29, v26, v29
	v_add_co_u32 v33, vcc_lo, v33, v34
	v_add_co_ci_u32_e32 v34, vcc_lo, 0, v35, vcc_lo
	s_delay_alu instid0(VALU_DEP_2) | instskip(NEXT) | instid1(VALU_DEP_2)
	v_add_co_u32 v30, vcc_lo, v33, v30
	v_add_co_ci_u32_e32 v30, vcc_lo, v34, v36, vcc_lo
	v_add_co_ci_u32_e32 v33, vcc_lo, 0, v37, vcc_lo
	s_delay_alu instid0(VALU_DEP_2) | instskip(NEXT) | instid1(VALU_DEP_2)
	v_add_co_u32 v29, vcc_lo, v30, v29
	v_add_co_ci_u32_e32 v30, vcc_lo, 0, v33, vcc_lo
	s_delay_alu instid0(VALU_DEP_2) | instskip(NEXT) | instid1(VALU_DEP_2)
	v_add_co_u32 v33, vcc_lo, v25, v29
	v_add_co_ci_u32_e32 v35, vcc_lo, v26, v30, vcc_lo
	s_delay_alu instid0(VALU_DEP_2) | instskip(SKIP_1) | instid1(VALU_DEP_3)
	v_mul_hi_u32 v36, v27, v33
	v_mad_u64_u32 v[29:30], null, v28, v33, 0
	v_mad_u64_u32 v[25:26], null, v27, v35, 0
	;; [unrolled: 1-line block ×3, first 2 shown]
	s_delay_alu instid0(VALU_DEP_2) | instskip(NEXT) | instid1(VALU_DEP_3)
	v_add_co_u32 v25, vcc_lo, v36, v25
	v_add_co_ci_u32_e32 v26, vcc_lo, 0, v26, vcc_lo
	s_delay_alu instid0(VALU_DEP_2) | instskip(NEXT) | instid1(VALU_DEP_2)
	v_add_co_u32 v25, vcc_lo, v25, v29
	v_add_co_ci_u32_e32 v25, vcc_lo, v26, v30, vcc_lo
	v_add_co_ci_u32_e32 v26, vcc_lo, 0, v34, vcc_lo
	s_delay_alu instid0(VALU_DEP_2) | instskip(NEXT) | instid1(VALU_DEP_2)
	v_add_co_u32 v29, vcc_lo, v25, v33
	v_add_co_ci_u32_e32 v30, vcc_lo, 0, v26, vcc_lo
	s_delay_alu instid0(VALU_DEP_2) | instskip(SKIP_1) | instid1(VALU_DEP_3)
	v_mul_lo_u32 v33, s39, v29
	v_mad_u64_u32 v[25:26], null, s38, v29, 0
	v_mul_lo_u32 v34, s38, v30
	s_delay_alu instid0(VALU_DEP_2) | instskip(NEXT) | instid1(VALU_DEP_2)
	v_sub_co_u32 v25, vcc_lo, v27, v25
	v_add3_u32 v26, v26, v34, v33
	s_delay_alu instid0(VALU_DEP_1) | instskip(NEXT) | instid1(VALU_DEP_1)
	v_sub_nc_u32_e32 v33, v28, v26
	v_subrev_co_ci_u32_e64 v27, s2, s39, v33, vcc_lo
	v_add_co_u32 v33, s2, v29, 2
	s_delay_alu instid0(VALU_DEP_1) | instskip(SKIP_3) | instid1(VALU_DEP_3)
	v_add_co_ci_u32_e64 v34, s2, 0, v30, s2
	v_sub_co_u32 v35, s2, v25, s38
	v_sub_co_ci_u32_e32 v26, vcc_lo, v28, v26, vcc_lo
	v_subrev_co_ci_u32_e64 v27, s2, 0, v27, s2
	v_cmp_le_u32_e32 vcc_lo, s38, v35
	s_delay_alu instid0(VALU_DEP_3) | instskip(SKIP_1) | instid1(VALU_DEP_4)
	v_cmp_eq_u32_e64 s2, s39, v26
	v_cndmask_b32_e64 v28, 0, -1, vcc_lo
	v_cmp_le_u32_e32 vcc_lo, s39, v27
	v_cndmask_b32_e64 v35, 0, -1, vcc_lo
	v_cmp_le_u32_e32 vcc_lo, s38, v25
	;; [unrolled: 2-line block ×3, first 2 shown]
	v_cndmask_b32_e64 v36, 0, -1, vcc_lo
	v_cmp_eq_u32_e32 vcc_lo, s39, v27
	s_delay_alu instid0(VALU_DEP_2) | instskip(SKIP_3) | instid1(VALU_DEP_3)
	v_cndmask_b32_e64 v25, v36, v25, s2
	v_cndmask_b32_e32 v27, v35, v28, vcc_lo
	v_add_co_u32 v28, vcc_lo, v29, 1
	v_add_co_ci_u32_e32 v35, vcc_lo, 0, v30, vcc_lo
	v_cmp_ne_u32_e32 vcc_lo, 0, v27
	s_delay_alu instid0(VALU_DEP_2) | instskip(SKIP_1) | instid1(VALU_DEP_2)
	v_dual_cndmask_b32 v26, v35, v34 :: v_dual_cndmask_b32 v27, v28, v33
	v_cmp_ne_u32_e32 vcc_lo, 0, v25
	v_dual_cndmask_b32 v26, v30, v26 :: v_dual_cndmask_b32 v25, v29, v27
                                        ; implicit-def: $vgpr27
.LBB32_209:
	s_and_not1_saveexec_b32 s2, s3
	s_cbranch_execz .LBB32_211
; %bb.210:
	v_cvt_f32_u32_e32 v25, s38
	s_sub_i32 s3, 0, s38
	s_delay_alu instid0(VALU_DEP_1) | instskip(SKIP_2) | instid1(VALU_DEP_1)
	v_rcp_iflag_f32_e32 v25, v25
	s_waitcnt_depctr 0xfff
	v_mul_f32_e32 v25, 0x4f7ffffe, v25
	v_cvt_u32_f32_e32 v25, v25
	s_delay_alu instid0(VALU_DEP_1) | instskip(NEXT) | instid1(VALU_DEP_1)
	v_mul_lo_u32 v26, s3, v25
	v_mul_hi_u32 v26, v25, v26
	s_delay_alu instid0(VALU_DEP_1) | instskip(NEXT) | instid1(VALU_DEP_1)
	v_add_nc_u32_e32 v25, v25, v26
	v_mul_hi_u32 v25, v27, v25
	s_delay_alu instid0(VALU_DEP_1) | instskip(NEXT) | instid1(VALU_DEP_1)
	v_mul_lo_u32 v26, v25, s38
	v_sub_nc_u32_e32 v26, v27, v26
	v_add_nc_u32_e32 v27, 1, v25
	s_delay_alu instid0(VALU_DEP_2) | instskip(SKIP_1) | instid1(VALU_DEP_2)
	v_subrev_nc_u32_e32 v28, s38, v26
	v_cmp_le_u32_e32 vcc_lo, s38, v26
	v_dual_cndmask_b32 v26, v26, v28 :: v_dual_cndmask_b32 v25, v25, v27
	s_delay_alu instid0(VALU_DEP_1) | instskip(NEXT) | instid1(VALU_DEP_2)
	v_cmp_le_u32_e32 vcc_lo, s38, v26
	v_dual_mov_b32 v26, 0 :: v_dual_add_nc_u32 v27, 1, v25
	s_delay_alu instid0(VALU_DEP_1)
	v_cndmask_b32_e32 v25, v25, v27, vcc_lo
.LBB32_211:
	s_or_b32 exec_lo, exec_lo, s2
	v_add_co_u32 v29, vcc_lo, 0xd00, v31
	v_add_co_ci_u32_e32 v30, vcc_lo, 0, v32, vcc_lo
	v_mov_b32_e32 v27, 0
	s_delay_alu instid0(VALU_DEP_2) | instskip(NEXT) | instid1(VALU_DEP_1)
	v_or_b32_e32 v28, s39, v30
	v_cmp_ne_u64_e32 vcc_lo, 0, v[27:28]
                                        ; implicit-def: $vgpr27_vgpr28
	s_and_saveexec_b32 s2, vcc_lo
	s_delay_alu instid0(SALU_CYCLE_1)
	s_xor_b32 s3, exec_lo, s2
	s_cbranch_execz .LBB32_213
; %bb.212:
	v_cvt_f32_u32_e32 v27, s38
	v_cvt_f32_u32_e32 v28, s39
	s_sub_u32 s2, 0, s38
	s_subb_u32 s4, 0, s39
	s_delay_alu instid0(VALU_DEP_1) | instskip(NEXT) | instid1(VALU_DEP_1)
	v_fmamk_f32 v27, v28, 0x4f800000, v27
	v_rcp_f32_e32 v27, v27
	s_waitcnt_depctr 0xfff
	v_mul_f32_e32 v27, 0x5f7ffffc, v27
	s_delay_alu instid0(VALU_DEP_1) | instskip(NEXT) | instid1(VALU_DEP_1)
	v_mul_f32_e32 v28, 0x2f800000, v27
	v_trunc_f32_e32 v28, v28
	s_delay_alu instid0(VALU_DEP_1) | instskip(SKIP_1) | instid1(VALU_DEP_2)
	v_fmamk_f32 v27, v28, 0xcf800000, v27
	v_cvt_u32_f32_e32 v28, v28
	v_cvt_u32_f32_e32 v27, v27
	s_delay_alu instid0(VALU_DEP_2) | instskip(NEXT) | instid1(VALU_DEP_2)
	v_mul_lo_u32 v33, s2, v28
	v_mul_hi_u32 v34, s2, v27
	s_waitcnt lgkmcnt(0)
	v_mul_lo_u32 v35, s4, v27
	s_delay_alu instid0(VALU_DEP_2) | instskip(SKIP_1) | instid1(VALU_DEP_2)
	v_add_nc_u32_e32 v33, v34, v33
	v_mul_lo_u32 v34, s2, v27
	v_add_nc_u32_e32 v33, v33, v35
	s_delay_alu instid0(VALU_DEP_2) | instskip(NEXT) | instid1(VALU_DEP_2)
	v_mul_hi_u32 v35, v27, v34
	v_mul_lo_u32 v36, v27, v33
	v_mul_hi_u32 v37, v27, v33
	v_mul_hi_u32 v38, v28, v34
	v_mul_lo_u32 v34, v28, v34
	v_mul_hi_u32 v39, v28, v33
	v_mul_lo_u32 v33, v28, v33
	v_add_co_u32 v35, vcc_lo, v35, v36
	v_add_co_ci_u32_e32 v36, vcc_lo, 0, v37, vcc_lo
	s_delay_alu instid0(VALU_DEP_2) | instskip(NEXT) | instid1(VALU_DEP_2)
	v_add_co_u32 v34, vcc_lo, v35, v34
	v_add_co_ci_u32_e32 v34, vcc_lo, v36, v38, vcc_lo
	v_add_co_ci_u32_e32 v35, vcc_lo, 0, v39, vcc_lo
	s_delay_alu instid0(VALU_DEP_2) | instskip(NEXT) | instid1(VALU_DEP_2)
	v_add_co_u32 v33, vcc_lo, v34, v33
	v_add_co_ci_u32_e32 v34, vcc_lo, 0, v35, vcc_lo
	s_delay_alu instid0(VALU_DEP_2) | instskip(NEXT) | instid1(VALU_DEP_2)
	v_add_co_u32 v27, vcc_lo, v27, v33
	v_add_co_ci_u32_e32 v28, vcc_lo, v28, v34, vcc_lo
	s_delay_alu instid0(VALU_DEP_2) | instskip(SKIP_1) | instid1(VALU_DEP_3)
	v_mul_hi_u32 v33, s2, v27
	v_mul_lo_u32 v35, s4, v27
	v_mul_lo_u32 v34, s2, v28
	s_delay_alu instid0(VALU_DEP_1) | instskip(SKIP_1) | instid1(VALU_DEP_2)
	v_add_nc_u32_e32 v33, v33, v34
	v_mul_lo_u32 v34, s2, v27
	v_add_nc_u32_e32 v33, v33, v35
	s_delay_alu instid0(VALU_DEP_2) | instskip(NEXT) | instid1(VALU_DEP_2)
	v_mul_hi_u32 v35, v27, v34
	v_mul_lo_u32 v36, v27, v33
	v_mul_hi_u32 v37, v27, v33
	v_mul_hi_u32 v38, v28, v34
	v_mul_lo_u32 v34, v28, v34
	v_mul_hi_u32 v39, v28, v33
	v_mul_lo_u32 v33, v28, v33
	v_add_co_u32 v35, vcc_lo, v35, v36
	v_add_co_ci_u32_e32 v36, vcc_lo, 0, v37, vcc_lo
	s_delay_alu instid0(VALU_DEP_2) | instskip(NEXT) | instid1(VALU_DEP_2)
	v_add_co_u32 v34, vcc_lo, v35, v34
	v_add_co_ci_u32_e32 v34, vcc_lo, v36, v38, vcc_lo
	v_add_co_ci_u32_e32 v35, vcc_lo, 0, v39, vcc_lo
	s_delay_alu instid0(VALU_DEP_2) | instskip(NEXT) | instid1(VALU_DEP_2)
	v_add_co_u32 v33, vcc_lo, v34, v33
	v_add_co_ci_u32_e32 v34, vcc_lo, 0, v35, vcc_lo
	s_delay_alu instid0(VALU_DEP_2) | instskip(NEXT) | instid1(VALU_DEP_2)
	v_add_co_u32 v35, vcc_lo, v27, v33
	v_add_co_ci_u32_e32 v37, vcc_lo, v28, v34, vcc_lo
	s_delay_alu instid0(VALU_DEP_2) | instskip(SKIP_1) | instid1(VALU_DEP_3)
	v_mul_hi_u32 v38, v29, v35
	v_mad_u64_u32 v[33:34], null, v30, v35, 0
	v_mad_u64_u32 v[27:28], null, v29, v37, 0
	;; [unrolled: 1-line block ×3, first 2 shown]
	s_delay_alu instid0(VALU_DEP_2) | instskip(NEXT) | instid1(VALU_DEP_3)
	v_add_co_u32 v27, vcc_lo, v38, v27
	v_add_co_ci_u32_e32 v28, vcc_lo, 0, v28, vcc_lo
	s_delay_alu instid0(VALU_DEP_2) | instskip(NEXT) | instid1(VALU_DEP_2)
	v_add_co_u32 v27, vcc_lo, v27, v33
	v_add_co_ci_u32_e32 v27, vcc_lo, v28, v34, vcc_lo
	v_add_co_ci_u32_e32 v28, vcc_lo, 0, v36, vcc_lo
	s_delay_alu instid0(VALU_DEP_2) | instskip(NEXT) | instid1(VALU_DEP_2)
	v_add_co_u32 v33, vcc_lo, v27, v35
	v_add_co_ci_u32_e32 v34, vcc_lo, 0, v28, vcc_lo
	s_delay_alu instid0(VALU_DEP_2) | instskip(SKIP_1) | instid1(VALU_DEP_3)
	v_mul_lo_u32 v35, s39, v33
	v_mad_u64_u32 v[27:28], null, s38, v33, 0
	v_mul_lo_u32 v36, s38, v34
	s_delay_alu instid0(VALU_DEP_2) | instskip(NEXT) | instid1(VALU_DEP_2)
	v_sub_co_u32 v27, vcc_lo, v29, v27
	v_add3_u32 v28, v28, v36, v35
	s_delay_alu instid0(VALU_DEP_1) | instskip(NEXT) | instid1(VALU_DEP_1)
	v_sub_nc_u32_e32 v35, v30, v28
	v_subrev_co_ci_u32_e64 v29, s2, s39, v35, vcc_lo
	v_add_co_u32 v35, s2, v33, 2
	s_delay_alu instid0(VALU_DEP_1) | instskip(SKIP_3) | instid1(VALU_DEP_3)
	v_add_co_ci_u32_e64 v36, s2, 0, v34, s2
	v_sub_co_u32 v37, s2, v27, s38
	v_sub_co_ci_u32_e32 v28, vcc_lo, v30, v28, vcc_lo
	v_subrev_co_ci_u32_e64 v29, s2, 0, v29, s2
	v_cmp_le_u32_e32 vcc_lo, s38, v37
	s_delay_alu instid0(VALU_DEP_3) | instskip(SKIP_1) | instid1(VALU_DEP_4)
	v_cmp_eq_u32_e64 s2, s39, v28
	v_cndmask_b32_e64 v30, 0, -1, vcc_lo
	v_cmp_le_u32_e32 vcc_lo, s39, v29
	v_cndmask_b32_e64 v37, 0, -1, vcc_lo
	v_cmp_le_u32_e32 vcc_lo, s38, v27
	;; [unrolled: 2-line block ×3, first 2 shown]
	v_cndmask_b32_e64 v38, 0, -1, vcc_lo
	v_cmp_eq_u32_e32 vcc_lo, s39, v29
	s_delay_alu instid0(VALU_DEP_2) | instskip(SKIP_3) | instid1(VALU_DEP_3)
	v_cndmask_b32_e64 v27, v38, v27, s2
	v_cndmask_b32_e32 v29, v37, v30, vcc_lo
	v_add_co_u32 v30, vcc_lo, v33, 1
	v_add_co_ci_u32_e32 v37, vcc_lo, 0, v34, vcc_lo
	v_cmp_ne_u32_e32 vcc_lo, 0, v29
	s_delay_alu instid0(VALU_DEP_2) | instskip(SKIP_1) | instid1(VALU_DEP_2)
	v_dual_cndmask_b32 v28, v37, v36 :: v_dual_cndmask_b32 v29, v30, v35
	v_cmp_ne_u32_e32 vcc_lo, 0, v27
	v_dual_cndmask_b32 v28, v34, v28 :: v_dual_cndmask_b32 v27, v33, v29
                                        ; implicit-def: $vgpr29
.LBB32_213:
	s_and_not1_saveexec_b32 s2, s3
	s_cbranch_execz .LBB32_215
; %bb.214:
	v_cvt_f32_u32_e32 v27, s38
	s_sub_i32 s3, 0, s38
	s_delay_alu instid0(VALU_DEP_1) | instskip(SKIP_2) | instid1(VALU_DEP_1)
	v_rcp_iflag_f32_e32 v27, v27
	s_waitcnt_depctr 0xfff
	v_mul_f32_e32 v27, 0x4f7ffffe, v27
	v_cvt_u32_f32_e32 v27, v27
	s_delay_alu instid0(VALU_DEP_1) | instskip(NEXT) | instid1(VALU_DEP_1)
	v_mul_lo_u32 v28, s3, v27
	v_mul_hi_u32 v28, v27, v28
	s_delay_alu instid0(VALU_DEP_1) | instskip(NEXT) | instid1(VALU_DEP_1)
	v_add_nc_u32_e32 v27, v27, v28
	v_mul_hi_u32 v27, v29, v27
	s_delay_alu instid0(VALU_DEP_1) | instskip(NEXT) | instid1(VALU_DEP_1)
	v_mul_lo_u32 v28, v27, s38
	v_sub_nc_u32_e32 v28, v29, v28
	v_add_nc_u32_e32 v29, 1, v27
	s_delay_alu instid0(VALU_DEP_2) | instskip(SKIP_1) | instid1(VALU_DEP_2)
	v_subrev_nc_u32_e32 v30, s38, v28
	v_cmp_le_u32_e32 vcc_lo, s38, v28
	v_dual_cndmask_b32 v28, v28, v30 :: v_dual_cndmask_b32 v27, v27, v29
	s_delay_alu instid0(VALU_DEP_1) | instskip(NEXT) | instid1(VALU_DEP_2)
	v_cmp_le_u32_e32 vcc_lo, s38, v28
	v_dual_mov_b32 v28, 0 :: v_dual_add_nc_u32 v29, 1, v27
	s_delay_alu instid0(VALU_DEP_1)
	v_cndmask_b32_e32 v27, v27, v29, vcc_lo
.LBB32_215:
	s_or_b32 exec_lo, exec_lo, s2
	v_add_co_u32 v33, vcc_lo, 0xe00, v31
	v_add_co_ci_u32_e32 v34, vcc_lo, 0, v32, vcc_lo
	v_mov_b32_e32 v29, 0
	s_delay_alu instid0(VALU_DEP_2) | instskip(NEXT) | instid1(VALU_DEP_1)
	v_or_b32_e32 v30, s39, v34
	v_cmp_ne_u64_e32 vcc_lo, 0, v[29:30]
                                        ; implicit-def: $vgpr29_vgpr30
	s_and_saveexec_b32 s2, vcc_lo
	s_delay_alu instid0(SALU_CYCLE_1)
	s_xor_b32 s3, exec_lo, s2
	s_cbranch_execz .LBB32_217
; %bb.216:
	v_cvt_f32_u32_e32 v29, s38
	v_cvt_f32_u32_e32 v30, s39
	s_sub_u32 s2, 0, s38
	s_subb_u32 s4, 0, s39
	s_delay_alu instid0(VALU_DEP_1) | instskip(NEXT) | instid1(VALU_DEP_1)
	v_fmamk_f32 v29, v30, 0x4f800000, v29
	v_rcp_f32_e32 v29, v29
	s_waitcnt_depctr 0xfff
	v_mul_f32_e32 v29, 0x5f7ffffc, v29
	s_delay_alu instid0(VALU_DEP_1) | instskip(NEXT) | instid1(VALU_DEP_1)
	v_mul_f32_e32 v30, 0x2f800000, v29
	v_trunc_f32_e32 v30, v30
	s_delay_alu instid0(VALU_DEP_1) | instskip(SKIP_1) | instid1(VALU_DEP_2)
	v_fmamk_f32 v29, v30, 0xcf800000, v29
	v_cvt_u32_f32_e32 v30, v30
	v_cvt_u32_f32_e32 v29, v29
	s_waitcnt lgkmcnt(0)
	s_delay_alu instid0(VALU_DEP_2) | instskip(NEXT) | instid1(VALU_DEP_2)
	v_mul_lo_u32 v35, s2, v30
	v_mul_hi_u32 v36, s2, v29
	v_mul_lo_u32 v37, s4, v29
	s_delay_alu instid0(VALU_DEP_2) | instskip(SKIP_1) | instid1(VALU_DEP_2)
	v_add_nc_u32_e32 v35, v36, v35
	v_mul_lo_u32 v36, s2, v29
	v_add_nc_u32_e32 v35, v35, v37
	s_delay_alu instid0(VALU_DEP_2) | instskip(NEXT) | instid1(VALU_DEP_2)
	v_mul_hi_u32 v37, v29, v36
	v_mul_lo_u32 v38, v29, v35
	v_mul_hi_u32 v39, v29, v35
	v_mul_hi_u32 v40, v30, v36
	v_mul_lo_u32 v36, v30, v36
	v_mul_hi_u32 v41, v30, v35
	v_mul_lo_u32 v35, v30, v35
	v_add_co_u32 v37, vcc_lo, v37, v38
	v_add_co_ci_u32_e32 v38, vcc_lo, 0, v39, vcc_lo
	s_delay_alu instid0(VALU_DEP_2) | instskip(NEXT) | instid1(VALU_DEP_2)
	v_add_co_u32 v36, vcc_lo, v37, v36
	v_add_co_ci_u32_e32 v36, vcc_lo, v38, v40, vcc_lo
	v_add_co_ci_u32_e32 v37, vcc_lo, 0, v41, vcc_lo
	s_delay_alu instid0(VALU_DEP_2) | instskip(NEXT) | instid1(VALU_DEP_2)
	v_add_co_u32 v35, vcc_lo, v36, v35
	v_add_co_ci_u32_e32 v36, vcc_lo, 0, v37, vcc_lo
	s_delay_alu instid0(VALU_DEP_2) | instskip(NEXT) | instid1(VALU_DEP_2)
	v_add_co_u32 v29, vcc_lo, v29, v35
	v_add_co_ci_u32_e32 v30, vcc_lo, v30, v36, vcc_lo
	s_delay_alu instid0(VALU_DEP_2) | instskip(SKIP_1) | instid1(VALU_DEP_3)
	v_mul_hi_u32 v35, s2, v29
	v_mul_lo_u32 v37, s4, v29
	v_mul_lo_u32 v36, s2, v30
	s_delay_alu instid0(VALU_DEP_1) | instskip(SKIP_1) | instid1(VALU_DEP_2)
	v_add_nc_u32_e32 v35, v35, v36
	v_mul_lo_u32 v36, s2, v29
	v_add_nc_u32_e32 v35, v35, v37
	s_delay_alu instid0(VALU_DEP_2) | instskip(NEXT) | instid1(VALU_DEP_2)
	v_mul_hi_u32 v37, v29, v36
	v_mul_lo_u32 v38, v29, v35
	v_mul_hi_u32 v39, v29, v35
	v_mul_hi_u32 v40, v30, v36
	v_mul_lo_u32 v36, v30, v36
	v_mul_hi_u32 v41, v30, v35
	v_mul_lo_u32 v35, v30, v35
	v_add_co_u32 v37, vcc_lo, v37, v38
	v_add_co_ci_u32_e32 v38, vcc_lo, 0, v39, vcc_lo
	s_delay_alu instid0(VALU_DEP_2) | instskip(NEXT) | instid1(VALU_DEP_2)
	v_add_co_u32 v36, vcc_lo, v37, v36
	v_add_co_ci_u32_e32 v36, vcc_lo, v38, v40, vcc_lo
	v_add_co_ci_u32_e32 v37, vcc_lo, 0, v41, vcc_lo
	s_delay_alu instid0(VALU_DEP_2) | instskip(NEXT) | instid1(VALU_DEP_2)
	v_add_co_u32 v35, vcc_lo, v36, v35
	v_add_co_ci_u32_e32 v36, vcc_lo, 0, v37, vcc_lo
	s_delay_alu instid0(VALU_DEP_2) | instskip(NEXT) | instid1(VALU_DEP_2)
	v_add_co_u32 v37, vcc_lo, v29, v35
	v_add_co_ci_u32_e32 v39, vcc_lo, v30, v36, vcc_lo
	s_delay_alu instid0(VALU_DEP_2) | instskip(SKIP_1) | instid1(VALU_DEP_3)
	v_mul_hi_u32 v40, v33, v37
	v_mad_u64_u32 v[35:36], null, v34, v37, 0
	v_mad_u64_u32 v[29:30], null, v33, v39, 0
	;; [unrolled: 1-line block ×3, first 2 shown]
	s_delay_alu instid0(VALU_DEP_2) | instskip(NEXT) | instid1(VALU_DEP_3)
	v_add_co_u32 v29, vcc_lo, v40, v29
	v_add_co_ci_u32_e32 v30, vcc_lo, 0, v30, vcc_lo
	s_delay_alu instid0(VALU_DEP_2) | instskip(NEXT) | instid1(VALU_DEP_2)
	v_add_co_u32 v29, vcc_lo, v29, v35
	v_add_co_ci_u32_e32 v29, vcc_lo, v30, v36, vcc_lo
	v_add_co_ci_u32_e32 v30, vcc_lo, 0, v38, vcc_lo
	s_delay_alu instid0(VALU_DEP_2) | instskip(NEXT) | instid1(VALU_DEP_2)
	v_add_co_u32 v35, vcc_lo, v29, v37
	v_add_co_ci_u32_e32 v36, vcc_lo, 0, v30, vcc_lo
	s_delay_alu instid0(VALU_DEP_2) | instskip(SKIP_1) | instid1(VALU_DEP_3)
	v_mul_lo_u32 v37, s39, v35
	v_mad_u64_u32 v[29:30], null, s38, v35, 0
	v_mul_lo_u32 v38, s38, v36
	s_delay_alu instid0(VALU_DEP_2) | instskip(NEXT) | instid1(VALU_DEP_2)
	v_sub_co_u32 v29, vcc_lo, v33, v29
	v_add3_u32 v30, v30, v38, v37
	s_delay_alu instid0(VALU_DEP_1) | instskip(NEXT) | instid1(VALU_DEP_1)
	v_sub_nc_u32_e32 v37, v34, v30
	v_subrev_co_ci_u32_e64 v33, s2, s39, v37, vcc_lo
	v_add_co_u32 v37, s2, v35, 2
	s_delay_alu instid0(VALU_DEP_1) | instskip(SKIP_3) | instid1(VALU_DEP_3)
	v_add_co_ci_u32_e64 v38, s2, 0, v36, s2
	v_sub_co_u32 v39, s2, v29, s38
	v_sub_co_ci_u32_e32 v30, vcc_lo, v34, v30, vcc_lo
	v_subrev_co_ci_u32_e64 v33, s2, 0, v33, s2
	v_cmp_le_u32_e32 vcc_lo, s38, v39
	s_delay_alu instid0(VALU_DEP_3) | instskip(SKIP_1) | instid1(VALU_DEP_4)
	v_cmp_eq_u32_e64 s2, s39, v30
	v_cndmask_b32_e64 v34, 0, -1, vcc_lo
	v_cmp_le_u32_e32 vcc_lo, s39, v33
	v_cndmask_b32_e64 v39, 0, -1, vcc_lo
	v_cmp_le_u32_e32 vcc_lo, s38, v29
	;; [unrolled: 2-line block ×3, first 2 shown]
	v_cndmask_b32_e64 v40, 0, -1, vcc_lo
	v_cmp_eq_u32_e32 vcc_lo, s39, v33
	s_delay_alu instid0(VALU_DEP_2) | instskip(SKIP_3) | instid1(VALU_DEP_3)
	v_cndmask_b32_e64 v29, v40, v29, s2
	v_cndmask_b32_e32 v33, v39, v34, vcc_lo
	v_add_co_u32 v34, vcc_lo, v35, 1
	v_add_co_ci_u32_e32 v39, vcc_lo, 0, v36, vcc_lo
	v_cmp_ne_u32_e32 vcc_lo, 0, v33
	s_delay_alu instid0(VALU_DEP_2) | instskip(SKIP_1) | instid1(VALU_DEP_2)
	v_dual_cndmask_b32 v30, v39, v38 :: v_dual_cndmask_b32 v33, v34, v37
	v_cmp_ne_u32_e32 vcc_lo, 0, v29
	v_dual_cndmask_b32 v30, v36, v30 :: v_dual_cndmask_b32 v29, v35, v33
                                        ; implicit-def: $vgpr33
.LBB32_217:
	s_and_not1_saveexec_b32 s2, s3
	s_cbranch_execz .LBB32_219
; %bb.218:
	v_cvt_f32_u32_e32 v29, s38
	s_sub_i32 s3, 0, s38
	s_delay_alu instid0(VALU_DEP_1) | instskip(SKIP_2) | instid1(VALU_DEP_1)
	v_rcp_iflag_f32_e32 v29, v29
	s_waitcnt_depctr 0xfff
	v_mul_f32_e32 v29, 0x4f7ffffe, v29
	v_cvt_u32_f32_e32 v29, v29
	s_delay_alu instid0(VALU_DEP_1) | instskip(NEXT) | instid1(VALU_DEP_1)
	v_mul_lo_u32 v30, s3, v29
	v_mul_hi_u32 v30, v29, v30
	s_delay_alu instid0(VALU_DEP_1) | instskip(NEXT) | instid1(VALU_DEP_1)
	v_add_nc_u32_e32 v29, v29, v30
	v_mul_hi_u32 v29, v33, v29
	s_delay_alu instid0(VALU_DEP_1) | instskip(NEXT) | instid1(VALU_DEP_1)
	v_mul_lo_u32 v30, v29, s38
	v_sub_nc_u32_e32 v30, v33, v30
	v_add_nc_u32_e32 v33, 1, v29
	s_delay_alu instid0(VALU_DEP_2) | instskip(SKIP_1) | instid1(VALU_DEP_2)
	v_subrev_nc_u32_e32 v34, s38, v30
	v_cmp_le_u32_e32 vcc_lo, s38, v30
	v_dual_cndmask_b32 v30, v30, v34 :: v_dual_cndmask_b32 v29, v29, v33
	s_delay_alu instid0(VALU_DEP_1) | instskip(NEXT) | instid1(VALU_DEP_2)
	v_cmp_le_u32_e32 vcc_lo, s38, v30
	v_dual_mov_b32 v30, 0 :: v_dual_add_nc_u32 v33, 1, v29
	s_delay_alu instid0(VALU_DEP_1)
	v_cndmask_b32_e32 v29, v29, v33, vcc_lo
.LBB32_219:
	s_or_b32 exec_lo, exec_lo, s2
	v_add_co_u32 v33, vcc_lo, 0xf00, v31
	v_add_co_ci_u32_e32 v34, vcc_lo, 0, v32, vcc_lo
	v_mov_b32_e32 v31, 0
	s_delay_alu instid0(VALU_DEP_2) | instskip(NEXT) | instid1(VALU_DEP_1)
	v_or_b32_e32 v32, s39, v34
	v_cmp_ne_u64_e32 vcc_lo, 0, v[31:32]
                                        ; implicit-def: $vgpr31_vgpr32
	s_and_saveexec_b32 s2, vcc_lo
	s_delay_alu instid0(SALU_CYCLE_1)
	s_xor_b32 s3, exec_lo, s2
	s_cbranch_execz .LBB32_221
; %bb.220:
	v_cvt_f32_u32_e32 v31, s38
	v_cvt_f32_u32_e32 v32, s39
	s_sub_u32 s2, 0, s38
	s_subb_u32 s4, 0, s39
	s_delay_alu instid0(VALU_DEP_1) | instskip(NEXT) | instid1(VALU_DEP_1)
	v_fmamk_f32 v31, v32, 0x4f800000, v31
	v_rcp_f32_e32 v31, v31
	s_waitcnt_depctr 0xfff
	v_mul_f32_e32 v31, 0x5f7ffffc, v31
	s_delay_alu instid0(VALU_DEP_1) | instskip(NEXT) | instid1(VALU_DEP_1)
	v_mul_f32_e32 v32, 0x2f800000, v31
	v_trunc_f32_e32 v32, v32
	s_delay_alu instid0(VALU_DEP_1) | instskip(SKIP_1) | instid1(VALU_DEP_2)
	v_fmamk_f32 v31, v32, 0xcf800000, v31
	v_cvt_u32_f32_e32 v32, v32
	v_cvt_u32_f32_e32 v31, v31
	s_waitcnt lgkmcnt(0)
	s_delay_alu instid0(VALU_DEP_2) | instskip(NEXT) | instid1(VALU_DEP_2)
	v_mul_lo_u32 v35, s2, v32
	v_mul_hi_u32 v36, s2, v31
	v_mul_lo_u32 v37, s4, v31
	s_delay_alu instid0(VALU_DEP_2) | instskip(SKIP_1) | instid1(VALU_DEP_2)
	v_add_nc_u32_e32 v35, v36, v35
	v_mul_lo_u32 v36, s2, v31
	v_add_nc_u32_e32 v35, v35, v37
	s_delay_alu instid0(VALU_DEP_2) | instskip(NEXT) | instid1(VALU_DEP_2)
	v_mul_hi_u32 v37, v31, v36
	v_mul_lo_u32 v38, v31, v35
	v_mul_hi_u32 v39, v31, v35
	v_mul_hi_u32 v40, v32, v36
	v_mul_lo_u32 v36, v32, v36
	v_mul_hi_u32 v41, v32, v35
	v_mul_lo_u32 v35, v32, v35
	v_add_co_u32 v37, vcc_lo, v37, v38
	v_add_co_ci_u32_e32 v38, vcc_lo, 0, v39, vcc_lo
	s_delay_alu instid0(VALU_DEP_2) | instskip(NEXT) | instid1(VALU_DEP_2)
	v_add_co_u32 v36, vcc_lo, v37, v36
	v_add_co_ci_u32_e32 v36, vcc_lo, v38, v40, vcc_lo
	v_add_co_ci_u32_e32 v37, vcc_lo, 0, v41, vcc_lo
	s_delay_alu instid0(VALU_DEP_2) | instskip(NEXT) | instid1(VALU_DEP_2)
	v_add_co_u32 v35, vcc_lo, v36, v35
	v_add_co_ci_u32_e32 v36, vcc_lo, 0, v37, vcc_lo
	s_delay_alu instid0(VALU_DEP_2) | instskip(NEXT) | instid1(VALU_DEP_2)
	v_add_co_u32 v31, vcc_lo, v31, v35
	v_add_co_ci_u32_e32 v32, vcc_lo, v32, v36, vcc_lo
	s_delay_alu instid0(VALU_DEP_2) | instskip(SKIP_1) | instid1(VALU_DEP_3)
	v_mul_hi_u32 v35, s2, v31
	v_mul_lo_u32 v37, s4, v31
	v_mul_lo_u32 v36, s2, v32
	s_delay_alu instid0(VALU_DEP_1) | instskip(SKIP_1) | instid1(VALU_DEP_2)
	v_add_nc_u32_e32 v35, v35, v36
	v_mul_lo_u32 v36, s2, v31
	v_add_nc_u32_e32 v35, v35, v37
	s_delay_alu instid0(VALU_DEP_2) | instskip(NEXT) | instid1(VALU_DEP_2)
	v_mul_hi_u32 v37, v31, v36
	v_mul_lo_u32 v38, v31, v35
	v_mul_hi_u32 v39, v31, v35
	v_mul_hi_u32 v40, v32, v36
	v_mul_lo_u32 v36, v32, v36
	v_mul_hi_u32 v41, v32, v35
	v_mul_lo_u32 v35, v32, v35
	v_add_co_u32 v37, vcc_lo, v37, v38
	v_add_co_ci_u32_e32 v38, vcc_lo, 0, v39, vcc_lo
	s_delay_alu instid0(VALU_DEP_2) | instskip(NEXT) | instid1(VALU_DEP_2)
	v_add_co_u32 v36, vcc_lo, v37, v36
	v_add_co_ci_u32_e32 v36, vcc_lo, v38, v40, vcc_lo
	v_add_co_ci_u32_e32 v37, vcc_lo, 0, v41, vcc_lo
	s_delay_alu instid0(VALU_DEP_2) | instskip(NEXT) | instid1(VALU_DEP_2)
	v_add_co_u32 v35, vcc_lo, v36, v35
	v_add_co_ci_u32_e32 v36, vcc_lo, 0, v37, vcc_lo
	s_delay_alu instid0(VALU_DEP_2) | instskip(NEXT) | instid1(VALU_DEP_2)
	v_add_co_u32 v37, vcc_lo, v31, v35
	v_add_co_ci_u32_e32 v39, vcc_lo, v32, v36, vcc_lo
	s_delay_alu instid0(VALU_DEP_2) | instskip(SKIP_1) | instid1(VALU_DEP_3)
	v_mul_hi_u32 v40, v33, v37
	v_mad_u64_u32 v[35:36], null, v34, v37, 0
	v_mad_u64_u32 v[31:32], null, v33, v39, 0
	;; [unrolled: 1-line block ×3, first 2 shown]
	s_delay_alu instid0(VALU_DEP_2) | instskip(NEXT) | instid1(VALU_DEP_3)
	v_add_co_u32 v31, vcc_lo, v40, v31
	v_add_co_ci_u32_e32 v32, vcc_lo, 0, v32, vcc_lo
	s_delay_alu instid0(VALU_DEP_2) | instskip(NEXT) | instid1(VALU_DEP_2)
	v_add_co_u32 v31, vcc_lo, v31, v35
	v_add_co_ci_u32_e32 v31, vcc_lo, v32, v36, vcc_lo
	v_add_co_ci_u32_e32 v32, vcc_lo, 0, v38, vcc_lo
	s_delay_alu instid0(VALU_DEP_2) | instskip(NEXT) | instid1(VALU_DEP_2)
	v_add_co_u32 v35, vcc_lo, v31, v37
	v_add_co_ci_u32_e32 v36, vcc_lo, 0, v32, vcc_lo
	s_delay_alu instid0(VALU_DEP_2) | instskip(SKIP_1) | instid1(VALU_DEP_3)
	v_mul_lo_u32 v37, s39, v35
	v_mad_u64_u32 v[31:32], null, s38, v35, 0
	v_mul_lo_u32 v38, s38, v36
	s_delay_alu instid0(VALU_DEP_2) | instskip(NEXT) | instid1(VALU_DEP_2)
	v_sub_co_u32 v31, vcc_lo, v33, v31
	v_add3_u32 v32, v32, v38, v37
	s_delay_alu instid0(VALU_DEP_1) | instskip(NEXT) | instid1(VALU_DEP_1)
	v_sub_nc_u32_e32 v37, v34, v32
	v_subrev_co_ci_u32_e64 v33, s2, s39, v37, vcc_lo
	v_add_co_u32 v37, s2, v35, 2
	s_delay_alu instid0(VALU_DEP_1) | instskip(SKIP_3) | instid1(VALU_DEP_3)
	v_add_co_ci_u32_e64 v38, s2, 0, v36, s2
	v_sub_co_u32 v39, s2, v31, s38
	v_sub_co_ci_u32_e32 v32, vcc_lo, v34, v32, vcc_lo
	v_subrev_co_ci_u32_e64 v33, s2, 0, v33, s2
	v_cmp_le_u32_e32 vcc_lo, s38, v39
	s_delay_alu instid0(VALU_DEP_3) | instskip(SKIP_1) | instid1(VALU_DEP_4)
	v_cmp_eq_u32_e64 s2, s39, v32
	v_cndmask_b32_e64 v34, 0, -1, vcc_lo
	v_cmp_le_u32_e32 vcc_lo, s39, v33
	v_cndmask_b32_e64 v39, 0, -1, vcc_lo
	v_cmp_le_u32_e32 vcc_lo, s38, v31
	;; [unrolled: 2-line block ×3, first 2 shown]
	v_cndmask_b32_e64 v40, 0, -1, vcc_lo
	v_cmp_eq_u32_e32 vcc_lo, s39, v33
	s_delay_alu instid0(VALU_DEP_2) | instskip(SKIP_3) | instid1(VALU_DEP_3)
	v_cndmask_b32_e64 v31, v40, v31, s2
	v_cndmask_b32_e32 v33, v39, v34, vcc_lo
	v_add_co_u32 v34, vcc_lo, v35, 1
	v_add_co_ci_u32_e32 v39, vcc_lo, 0, v36, vcc_lo
	v_cmp_ne_u32_e32 vcc_lo, 0, v33
	s_delay_alu instid0(VALU_DEP_2) | instskip(SKIP_1) | instid1(VALU_DEP_2)
	v_dual_cndmask_b32 v32, v39, v38 :: v_dual_cndmask_b32 v33, v34, v37
	v_cmp_ne_u32_e32 vcc_lo, 0, v31
	v_dual_cndmask_b32 v32, v36, v32 :: v_dual_cndmask_b32 v31, v35, v33
                                        ; implicit-def: $vgpr33
.LBB32_221:
	s_and_not1_saveexec_b32 s2, s3
	s_cbranch_execz .LBB32_223
; %bb.222:
	v_cvt_f32_u32_e32 v31, s38
	s_sub_i32 s3, 0, s38
	s_delay_alu instid0(VALU_DEP_1) | instskip(SKIP_2) | instid1(VALU_DEP_1)
	v_rcp_iflag_f32_e32 v31, v31
	s_waitcnt_depctr 0xfff
	v_mul_f32_e32 v31, 0x4f7ffffe, v31
	v_cvt_u32_f32_e32 v31, v31
	s_delay_alu instid0(VALU_DEP_1) | instskip(NEXT) | instid1(VALU_DEP_1)
	v_mul_lo_u32 v32, s3, v31
	v_mul_hi_u32 v32, v31, v32
	s_delay_alu instid0(VALU_DEP_1) | instskip(NEXT) | instid1(VALU_DEP_1)
	v_add_nc_u32_e32 v31, v31, v32
	v_mul_hi_u32 v31, v33, v31
	s_delay_alu instid0(VALU_DEP_1) | instskip(NEXT) | instid1(VALU_DEP_1)
	v_mul_lo_u32 v32, v31, s38
	v_sub_nc_u32_e32 v32, v33, v32
	v_add_nc_u32_e32 v33, 1, v31
	s_delay_alu instid0(VALU_DEP_2) | instskip(SKIP_1) | instid1(VALU_DEP_2)
	v_subrev_nc_u32_e32 v34, s38, v32
	v_cmp_le_u32_e32 vcc_lo, s38, v32
	v_dual_cndmask_b32 v32, v32, v34 :: v_dual_cndmask_b32 v31, v31, v33
	s_delay_alu instid0(VALU_DEP_1) | instskip(NEXT) | instid1(VALU_DEP_2)
	v_cmp_le_u32_e32 vcc_lo, s38, v32
	v_dual_mov_b32 v32, 0 :: v_dual_add_nc_u32 v33, 1, v31
	s_delay_alu instid0(VALU_DEP_1)
	v_cndmask_b32_e32 v31, v31, v33, vcc_lo
.LBB32_223:
	s_or_b32 exec_lo, exec_lo, s2
	v_or_b32_e32 v33, 0x100, v0
	v_lshrrev_b32_e32 v34, 5, v0
	v_or_b32_e32 v36, 0x200, v0
	v_or_b32_e32 v37, 0x300, v0
	;; [unrolled: 1-line block ×3, first 2 shown]
	v_lshrrev_b32_e32 v33, 5, v33
	s_waitcnt lgkmcnt(0)
	v_add_nc_u32_e32 v35, v34, v0
	v_lshrrev_b32_e32 v34, 5, v36
	v_or_b32_e32 v39, 0x500, v0
	v_or_b32_e32 v41, 0x600, v0
	v_add_nc_u32_e32 v36, v33, v0
	v_lshrrev_b32_e32 v33, 5, v37
	v_lshrrev_b32_e32 v37, 5, v38
	v_lshlrev_b32_e32 v42, 3, v35
	v_add_nc_u32_e32 v40, v34, v0
	v_lshlrev_b32_e32 v43, 3, v36
	v_add_nc_u32_e32 v38, v33, v0
	v_add_nc_u32_e32 v37, v37, v0
	v_lshrrev_b32_e32 v39, 5, v39
	ds_store_b64 v42, v[1:2]
	ds_store_b64 v43, v[3:4] offset:2048
	v_lshlrev_b32_e32 v1, 3, v40
	v_lshrrev_b32_e32 v4, 5, v41
	v_lshlrev_b32_e32 v2, 3, v38
	v_lshlrev_b32_e32 v3, 3, v37
	v_add_nc_u32_e32 v39, v39, v0
	ds_store_b64 v1, v[5:6] offset:4096
	ds_store_b64 v2, v[7:8] offset:6144
	ds_store_b64 v3, v[9:10] offset:8192
	v_add_nc_u32_e32 v41, v4, v0
	v_or_b32_e32 v1, 0x700, v0
	v_lshlrev_b32_e32 v33, 3, v39
	v_or_b32_e32 v5, 0xa00, v0
	v_or_b32_e32 v2, 0x800, v0
	v_lshlrev_b32_e32 v4, 3, v41
	v_lshrrev_b32_e32 v1, 5, v1
	v_or_b32_e32 v3, 0x900, v0
	ds_store_b64 v33, v[11:12] offset:10240
	v_lshrrev_b32_e32 v2, 5, v2
	ds_store_b64 v4, v[13:14] offset:12288
	v_lshrrev_b32_e32 v4, 5, v5
	v_add_nc_u32_e32 v44, v1, v0
	v_or_b32_e32 v1, 0xb00, v0
	v_lshrrev_b32_e32 v3, 5, v3
	v_add_nc_u32_e32 v43, v2, v0
	v_add_nc_u32_e32 v45, v4, v0
	v_lshlrev_b32_e32 v2, 3, v44
	v_lshrrev_b32_e32 v1, 5, v1
	v_add_nc_u32_e32 v42, v3, v0
	v_lshlrev_b32_e32 v3, 3, v43
	v_lshlrev_b32_e32 v5, 3, v45
	s_cmp_eq_u64 s[40:41], 0
	v_add_nc_u32_e32 v46, v1, v0
	v_or_b32_e32 v1, 0xc00, v0
	v_lshlrev_b32_e32 v4, 3, v42
	ds_store_b64 v2, v[15:16] offset:14336
	ds_store_b64 v3, v[17:18] offset:16384
	;; [unrolled: 1-line block ×4, first 2 shown]
	v_lshlrev_b32_e32 v4, 3, v46
	v_or_b32_e32 v5, 0xf00, v0
	v_lshrrev_b32_e32 v1, 5, v1
	v_or_b32_e32 v2, 0xd00, v0
	v_or_b32_e32 v3, 0xe00, v0
	ds_store_b64 v4, v[23:24] offset:22528
	v_lshrrev_b32_e32 v4, 5, v5
	v_add_nc_u32_e32 v49, v1, v0
	v_lshrrev_b32_e32 v1, 1, v0
	v_lshrrev_b32_e32 v2, 5, v2
	;; [unrolled: 1-line block ×3, first 2 shown]
	v_add_nc_u32_e32 v51, v4, v0
	s_delay_alu instid0(VALU_DEP_4) | instskip(NEXT) | instid1(VALU_DEP_4)
	v_lshl_add_u32 v50, v0, 4, v1
	v_add_nc_u32_e32 v48, v2, v0
	s_delay_alu instid0(VALU_DEP_4)
	v_add_nc_u32_e32 v47, v3, v0
	v_lshlrev_b32_e32 v2, 3, v49
	v_lshlrev_b32_e32 v1, 3, v51
	;; [unrolled: 1-line block ×5, first 2 shown]
	ds_store_b64 v2, v[25:26] offset:24576
	ds_store_b64 v3, v[27:28] offset:26624
	;; [unrolled: 1-line block ×4, first 2 shown]
	s_waitcnt lgkmcnt(0)
	s_barrier
	buffer_gl0_inv
	ds_load_2addr_b64 v[29:32], v5 offset1:1
	ds_load_2addr_b64 v[25:28], v5 offset0:2 offset1:3
	ds_load_2addr_b64 v[21:24], v5 offset0:4 offset1:5
	;; [unrolled: 1-line block ×7, first 2 shown]
	s_cbranch_scc1 .LBB32_241
; %bb.224:
	s_and_not1_b32 vcc_lo, exec_lo, s48
	s_cbranch_vccnz .LBB32_242
; %bb.225:
	s_lshl_b64 s[2:3], s[40:41], 3
	s_delay_alu instid0(SALU_CYCLE_1)
	s_add_u32 s2, s26, s2
	s_addc_u32 s3, s27, s3
	s_add_u32 s2, s2, -8
	s_addc_u32 s3, s3, -1
	s_load_b64 s[2:3], s[2:3], 0x0
	s_waitcnt lgkmcnt(0)
	v_dual_mov_b32 v34, s3 :: v_dual_mov_b32 v33, s2
	s_cbranch_execz .LBB32_243
	s_branch .LBB32_246
.LBB32_226:
	v_lshlrev_b32_e32 v63, 2, v0
	s_delay_alu instid0(VALU_DEP_1) | instskip(NEXT) | instid1(VALU_DEP_1)
	v_add_co_u32 v63, s2, s31, v63
	v_add_co_ci_u32_e64 v64, null, s33, 0, s2
	flat_load_b32 v63, v[63:64]
	s_or_b32 exec_lo, exec_lo, s19
                                        ; implicit-def: $vgpr64
	s_and_saveexec_b32 s2, s3
	s_cbranch_execz .LBB32_113
.LBB32_227:
	v_lshlrev_b32_e32 v64, 2, v0
	s_delay_alu instid0(VALU_DEP_1) | instskip(NEXT) | instid1(VALU_DEP_1)
	v_add_co_u32 v68, s3, s31, v64
	v_add_co_ci_u32_e64 v69, null, s33, 0, s3
	flat_load_b32 v64, v[68:69] offset:1024
	s_or_b32 exec_lo, exec_lo, s2
                                        ; implicit-def: $vgpr66
	s_and_saveexec_b32 s2, s4
	s_cbranch_execz .LBB32_114
.LBB32_228:
	v_lshlrev_b32_e32 v66, 2, v0
	s_delay_alu instid0(VALU_DEP_1) | instskip(NEXT) | instid1(VALU_DEP_1)
	v_add_co_u32 v68, s3, s31, v66
	v_add_co_ci_u32_e64 v69, null, s33, 0, s3
	flat_load_b32 v66, v[68:69] offset:2048
	s_or_b32 exec_lo, exec_lo, s2
                                        ; implicit-def: $vgpr68
	s_and_saveexec_b32 s2, s5
	s_cbranch_execz .LBB32_115
.LBB32_229:
	v_lshlrev_b32_e32 v68, 2, v0
	s_delay_alu instid0(VALU_DEP_1) | instskip(NEXT) | instid1(VALU_DEP_1)
	v_add_co_u32 v68, s3, s31, v68
	v_add_co_ci_u32_e64 v69, null, s33, 0, s3
	flat_load_b32 v68, v[68:69] offset:3072
	s_or_b32 exec_lo, exec_lo, s2
                                        ; implicit-def: $vgpr69
	s_and_saveexec_b32 s2, s6
	s_cbranch_execz .LBB32_116
.LBB32_230:
	v_lshlrev_b32_e32 v36, 2, v36
	s_delay_alu instid0(VALU_DEP_1) | instskip(NEXT) | instid1(VALU_DEP_1)
	v_add_co_u32 v69, s3, s31, v36
	v_add_co_ci_u32_e64 v70, null, s33, 0, s3
	flat_load_b32 v69, v[69:70]
	s_or_b32 exec_lo, exec_lo, s2
                                        ; implicit-def: $vgpr36
	s_and_saveexec_b32 s2, s7
	s_cbranch_execz .LBB32_117
.LBB32_231:
	v_lshlrev_b32_e32 v36, 2, v38
	s_delay_alu instid0(VALU_DEP_1) | instskip(NEXT) | instid1(VALU_DEP_1)
	v_add_co_u32 v70, s3, s31, v36
	v_add_co_ci_u32_e64 v71, null, s33, 0, s3
	flat_load_b32 v36, v[70:71]
	s_or_b32 exec_lo, exec_lo, s2
                                        ; implicit-def: $vgpr38
	s_and_saveexec_b32 s2, s8
	s_cbranch_execz .LBB32_118
.LBB32_232:
	v_lshlrev_b32_e32 v38, 2, v40
	s_delay_alu instid0(VALU_DEP_1) | instskip(NEXT) | instid1(VALU_DEP_1)
	v_add_co_u32 v70, s3, s31, v38
	v_add_co_ci_u32_e64 v71, null, s33, 0, s3
	flat_load_b32 v38, v[70:71]
	s_or_b32 exec_lo, exec_lo, s2
                                        ; implicit-def: $vgpr40
	s_and_saveexec_b32 s2, s9
	s_cbranch_execz .LBB32_119
.LBB32_233:
	v_lshlrev_b32_e32 v40, 2, v41
	s_delay_alu instid0(VALU_DEP_1) | instskip(NEXT) | instid1(VALU_DEP_1)
	v_add_co_u32 v40, s3, s31, v40
	v_add_co_ci_u32_e64 v41, null, s33, 0, s3
	flat_load_b32 v40, v[40:41]
	s_or_b32 exec_lo, exec_lo, s2
                                        ; implicit-def: $vgpr41
	s_and_saveexec_b32 s2, s10
	s_cbranch_execz .LBB32_120
.LBB32_234:
	v_lshlrev_b32_e32 v41, 2, v42
	s_delay_alu instid0(VALU_DEP_1) | instskip(NEXT) | instid1(VALU_DEP_1)
	v_add_co_u32 v41, s3, s31, v41
	v_add_co_ci_u32_e64 v42, null, s33, 0, s3
	flat_load_b32 v41, v[41:42]
	s_or_b32 exec_lo, exec_lo, s2
                                        ; implicit-def: $vgpr42
	s_and_saveexec_b32 s2, s11
	s_cbranch_execz .LBB32_121
.LBB32_235:
	v_lshlrev_b32_e32 v42, 2, v43
	s_delay_alu instid0(VALU_DEP_1) | instskip(NEXT) | instid1(VALU_DEP_1)
	v_add_co_u32 v42, s3, s31, v42
	v_add_co_ci_u32_e64 v43, null, s33, 0, s3
	flat_load_b32 v42, v[42:43]
	s_or_b32 exec_lo, exec_lo, s2
                                        ; implicit-def: $vgpr43
	s_and_saveexec_b32 s2, s12
	s_cbranch_execz .LBB32_122
.LBB32_236:
	v_lshlrev_b32_e32 v43, 2, v44
	s_delay_alu instid0(VALU_DEP_1) | instskip(NEXT) | instid1(VALU_DEP_1)
	v_add_co_u32 v43, s3, s31, v43
	v_add_co_ci_u32_e64 v44, null, s33, 0, s3
	flat_load_b32 v43, v[43:44]
	s_or_b32 exec_lo, exec_lo, s2
                                        ; implicit-def: $vgpr44
	s_and_saveexec_b32 s2, s13
	s_cbranch_execz .LBB32_123
.LBB32_237:
	v_lshlrev_b32_e32 v44, 2, v45
	s_delay_alu instid0(VALU_DEP_1) | instskip(NEXT) | instid1(VALU_DEP_1)
	v_add_co_u32 v44, s3, s31, v44
	v_add_co_ci_u32_e64 v45, null, s33, 0, s3
	flat_load_b32 v44, v[44:45]
	s_or_b32 exec_lo, exec_lo, s2
                                        ; implicit-def: $vgpr45
	s_and_saveexec_b32 s2, s14
	s_cbranch_execz .LBB32_124
.LBB32_238:
	v_lshlrev_b32_e32 v45, 2, v46
	s_delay_alu instid0(VALU_DEP_1) | instskip(NEXT) | instid1(VALU_DEP_1)
	v_add_co_u32 v45, s3, s31, v45
	v_add_co_ci_u32_e64 v46, null, s33, 0, s3
	flat_load_b32 v45, v[45:46]
	s_or_b32 exec_lo, exec_lo, s2
                                        ; implicit-def: $vgpr46
	s_and_saveexec_b32 s2, s16
	s_cbranch_execz .LBB32_125
.LBB32_239:
	v_lshlrev_b32_e32 v46, 2, v47
	s_delay_alu instid0(VALU_DEP_1) | instskip(NEXT) | instid1(VALU_DEP_1)
	v_add_co_u32 v46, s3, s31, v46
	v_add_co_ci_u32_e64 v47, null, s33, 0, s3
	flat_load_b32 v46, v[46:47]
	s_or_b32 exec_lo, exec_lo, s2
                                        ; implicit-def: $vgpr47
	s_and_saveexec_b32 s2, s17
	s_cbranch_execz .LBB32_126
.LBB32_240:
	v_lshlrev_b32_e32 v47, 2, v48
	s_delay_alu instid0(VALU_DEP_1) | instskip(NEXT) | instid1(VALU_DEP_1)
	v_add_co_u32 v47, s3, s31, v47
	v_add_co_ci_u32_e64 v48, null, s33, 0, s3
	flat_load_b32 v47, v[47:48]
	s_or_b32 exec_lo, exec_lo, s2
                                        ; implicit-def: $vgpr48
	s_and_saveexec_b32 s2, s18
	s_cbranch_execnz .LBB32_127
	s_branch .LBB32_128
.LBB32_241:
                                        ; implicit-def: $vgpr33_vgpr34
	s_branch .LBB32_247
.LBB32_242:
                                        ; implicit-def: $sgpr2_sgpr3
	v_dual_mov_b32 v34, s3 :: v_dual_mov_b32 v33, s2
.LBB32_243:
	s_add_u32 s4, s36, -1
	s_addc_u32 s5, s37, -1
	s_delay_alu instid0(SALU_CYCLE_1) | instskip(SKIP_1) | instid1(SALU_CYCLE_1)
	s_or_b64 s[6:7], s[4:5], s[38:39]
	s_mov_b32 s6, 0
	s_cmp_lg_u64 s[6:7], 0
	s_cbranch_scc0 .LBB32_351
; %bb.244:
	v_cvt_f32_u32_e32 v33, s38
	v_cvt_f32_u32_e32 v34, s39
	s_sub_u32 s7, 0, s38
	s_subb_u32 s8, 0, s39
	s_delay_alu instid0(VALU_DEP_1) | instskip(NEXT) | instid1(VALU_DEP_1)
	v_fmamk_f32 v33, v34, 0x4f800000, v33
	v_rcp_f32_e32 v33, v33
	s_waitcnt_depctr 0xfff
	v_mul_f32_e32 v33, 0x5f7ffffc, v33
	s_delay_alu instid0(VALU_DEP_1) | instskip(NEXT) | instid1(VALU_DEP_1)
	v_mul_f32_e32 v34, 0x2f800000, v33
	v_trunc_f32_e32 v34, v34
	s_delay_alu instid0(VALU_DEP_1) | instskip(SKIP_1) | instid1(VALU_DEP_2)
	v_fmamk_f32 v33, v34, 0xcf800000, v33
	v_cvt_u32_f32_e32 v34, v34
	v_cvt_u32_f32_e32 v33, v33
	s_delay_alu instid0(VALU_DEP_2) | instskip(NEXT) | instid1(VALU_DEP_2)
	v_readfirstlane_b32 s2, v34
	v_readfirstlane_b32 s3, v33
	s_delay_alu instid0(VALU_DEP_2) | instskip(NEXT) | instid1(VALU_DEP_1)
	s_mul_i32 s9, s7, s2
	s_mul_hi_u32 s11, s7, s3
	s_mul_i32 s10, s8, s3
	s_add_i32 s9, s11, s9
	s_mul_i32 s12, s7, s3
	s_add_i32 s9, s9, s10
	s_mul_hi_u32 s11, s3, s12
	s_mul_hi_u32 s13, s2, s12
	s_mul_i32 s10, s2, s12
	s_mul_hi_u32 s12, s3, s9
	s_mul_i32 s3, s3, s9
	s_mul_hi_u32 s14, s2, s9
	s_add_u32 s3, s11, s3
	s_addc_u32 s11, 0, s12
	s_add_u32 s3, s3, s10
	s_mul_i32 s9, s2, s9
	s_addc_u32 s3, s11, s13
	s_addc_u32 s10, s14, 0
	s_add_u32 s3, s3, s9
	s_addc_u32 s9, 0, s10
	v_add_co_u32 v33, s3, v33, s3
	s_delay_alu instid0(VALU_DEP_1) | instskip(SKIP_1) | instid1(VALU_DEP_1)
	s_cmp_lg_u32 s3, 0
	s_addc_u32 s2, s2, s9
	v_readfirstlane_b32 s3, v33
	s_mul_i32 s9, s7, s2
	s_delay_alu instid0(VALU_DEP_1)
	s_mul_hi_u32 s10, s7, s3
	s_mul_i32 s8, s8, s3
	s_add_i32 s9, s10, s9
	s_mul_i32 s7, s7, s3
	s_add_i32 s9, s9, s8
	s_mul_hi_u32 s10, s2, s7
	s_mul_i32 s11, s2, s7
	s_mul_hi_u32 s7, s3, s7
	s_mul_hi_u32 s12, s3, s9
	s_mul_i32 s3, s3, s9
	s_mul_hi_u32 s8, s2, s9
	s_add_u32 s3, s7, s3
	s_addc_u32 s7, 0, s12
	s_add_u32 s3, s3, s11
	s_mul_i32 s9, s2, s9
	s_addc_u32 s3, s7, s10
	s_addc_u32 s7, s8, 0
	s_add_u32 s3, s3, s9
	s_addc_u32 s7, 0, s7
	v_add_co_u32 v33, s3, v33, s3
	s_delay_alu instid0(VALU_DEP_1) | instskip(SKIP_1) | instid1(VALU_DEP_1)
	s_cmp_lg_u32 s3, 0
	s_addc_u32 s2, s2, s7
	v_readfirstlane_b32 s3, v33
	s_mul_i32 s8, s4, s2
	s_mul_hi_u32 s7, s4, s2
	s_mul_hi_u32 s9, s5, s2
	s_mul_i32 s2, s5, s2
	s_mul_hi_u32 s10, s4, s3
	s_mul_hi_u32 s11, s5, s3
	s_mul_i32 s3, s5, s3
	s_add_u32 s8, s10, s8
	s_addc_u32 s7, 0, s7
	s_add_u32 s3, s8, s3
	s_addc_u32 s3, s7, s11
	s_addc_u32 s7, s9, 0
	s_add_u32 s3, s3, s2
	s_addc_u32 s7, 0, s7
	s_mul_hi_u32 s2, s38, s3
	s_mul_i32 s9, s38, s7
	s_mul_i32 s10, s38, s3
	s_add_i32 s2, s2, s9
	v_sub_co_u32 v33, s9, s4, s10
	s_mul_i32 s8, s39, s3
	s_delay_alu instid0(SALU_CYCLE_1) | instskip(NEXT) | instid1(VALU_DEP_1)
	s_add_i32 s2, s2, s8
	v_sub_co_u32 v34, s10, v33, s38
	s_sub_i32 s8, s5, s2
	s_cmp_lg_u32 s9, 0
	s_subb_u32 s8, s8, s39
	s_cmp_lg_u32 s10, 0
	v_cmp_le_u32_e32 vcc_lo, s38, v34
	s_subb_u32 s8, s8, 0
	s_delay_alu instid0(SALU_CYCLE_1)
	s_cmp_ge_u32 s8, s39
	v_cndmask_b32_e64 v34, 0, -1, vcc_lo
	s_cselect_b32 s10, -1, 0
	s_cmp_eq_u32 s8, s39
	s_cselect_b32 vcc_lo, -1, 0
	s_add_u32 s8, s3, 1
	v_cndmask_b32_e32 v34, s10, v34, vcc_lo
	s_addc_u32 s10, s7, 0
	s_add_u32 s11, s3, 2
	s_addc_u32 s12, s7, 0
	s_cmp_lg_u32 s9, 0
	v_cmp_le_u32_e32 vcc_lo, s38, v33
	s_subb_u32 s2, s5, s2
	v_mov_b32_e32 v52, s11
	s_cmp_ge_u32 s2, s39
	v_cndmask_b32_e64 v33, 0, -1, vcc_lo
	s_cselect_b32 s5, -1, 0
	s_cmp_eq_u32 s2, s39
	v_cmp_ne_u32_e32 vcc_lo, 0, v34
	v_mov_b32_e32 v34, s12
	s_cselect_b32 s2, -1, 0
	s_delay_alu instid0(SALU_CYCLE_1) | instskip(SKIP_1) | instid1(VALU_DEP_3)
	v_cndmask_b32_e64 v33, s5, v33, s2
	v_cndmask_b32_e32 v52, s8, v52, vcc_lo
	v_cndmask_b32_e32 v34, s10, v34, vcc_lo
	s_delay_alu instid0(VALU_DEP_3) | instskip(NEXT) | instid1(VALU_DEP_2)
	v_cmp_ne_u32_e32 vcc_lo, 0, v33
	v_cndmask_b32_e32 v34, s7, v34, vcc_lo
	s_delay_alu instid0(VALU_DEP_4)
	v_cndmask_b32_e32 v33, s3, v52, vcc_lo
	s_and_not1_b32 vcc_lo, exec_lo, s6
	s_cbranch_vccnz .LBB32_246
.LBB32_245:
	v_cvt_f32_u32_e32 v33, s38
	s_sub_i32 s3, 0, s38
	s_delay_alu instid0(VALU_DEP_1) | instskip(SKIP_2) | instid1(VALU_DEP_1)
	v_rcp_iflag_f32_e32 v33, v33
	s_waitcnt_depctr 0xfff
	v_mul_f32_e32 v33, 0x4f7ffffe, v33
	v_cvt_u32_f32_e32 v33, v33
	s_delay_alu instid0(VALU_DEP_1) | instskip(NEXT) | instid1(VALU_DEP_1)
	v_readfirstlane_b32 s2, v33
	s_mul_i32 s3, s3, s2
	s_delay_alu instid0(SALU_CYCLE_1) | instskip(NEXT) | instid1(SALU_CYCLE_1)
	s_mul_hi_u32 s3, s2, s3
	s_add_i32 s2, s2, s3
	s_delay_alu instid0(SALU_CYCLE_1) | instskip(NEXT) | instid1(SALU_CYCLE_1)
	s_mul_hi_u32 s2, s4, s2
	s_mul_i32 s3, s2, s38
	s_delay_alu instid0(SALU_CYCLE_1)
	s_sub_i32 s3, s4, s3
	s_add_i32 s4, s2, 1
	s_sub_i32 s5, s3, s38
	s_cmp_ge_u32 s3, s38
	s_cselect_b32 s2, s4, s2
	s_cselect_b32 s3, s5, s3
	s_add_i32 s4, s2, 1
	s_cmp_ge_u32 s3, s38
	s_mov_b32 s3, 0
	s_cselect_b32 s2, s4, s2
	s_delay_alu instid0(SALU_CYCLE_1)
	v_dual_mov_b32 v34, s3 :: v_dual_mov_b32 v33, s2
.LBB32_246:
	s_cbranch_execnz .LBB32_250
.LBB32_247:
	s_or_b64 s[4:5], s[36:37], s[38:39]
	s_mov_b32 s4, 0
	s_delay_alu instid0(SALU_CYCLE_1)
	s_cmp_lg_u64 s[4:5], 0
	s_cbranch_scc0 .LBB32_349
; %bb.248:
	v_cvt_f32_u32_e32 v33, s38
	v_cvt_f32_u32_e32 v34, s39
	s_sub_u32 s5, 0, s38
	s_subb_u32 s6, 0, s39
	s_delay_alu instid0(VALU_DEP_1) | instskip(NEXT) | instid1(VALU_DEP_1)
	v_fmamk_f32 v33, v34, 0x4f800000, v33
	v_rcp_f32_e32 v33, v33
	s_waitcnt_depctr 0xfff
	v_mul_f32_e32 v33, 0x5f7ffffc, v33
	s_delay_alu instid0(VALU_DEP_1) | instskip(NEXT) | instid1(VALU_DEP_1)
	v_mul_f32_e32 v34, 0x2f800000, v33
	v_trunc_f32_e32 v34, v34
	s_delay_alu instid0(VALU_DEP_1) | instskip(SKIP_1) | instid1(VALU_DEP_2)
	v_fmamk_f32 v33, v34, 0xcf800000, v33
	v_cvt_u32_f32_e32 v34, v34
	v_cvt_u32_f32_e32 v33, v33
	s_delay_alu instid0(VALU_DEP_2) | instskip(NEXT) | instid1(VALU_DEP_2)
	v_readfirstlane_b32 s2, v34
	v_readfirstlane_b32 s3, v33
	s_delay_alu instid0(VALU_DEP_2) | instskip(NEXT) | instid1(VALU_DEP_1)
	s_mul_i32 s7, s5, s2
	s_mul_hi_u32 s9, s5, s3
	s_mul_i32 s8, s6, s3
	s_add_i32 s7, s9, s7
	s_mul_i32 s10, s5, s3
	s_add_i32 s7, s7, s8
	s_mul_hi_u32 s9, s3, s10
	s_mul_hi_u32 s11, s2, s10
	s_mul_i32 s8, s2, s10
	s_mul_hi_u32 s10, s3, s7
	s_mul_i32 s3, s3, s7
	s_mul_hi_u32 s12, s2, s7
	s_add_u32 s3, s9, s3
	s_addc_u32 s9, 0, s10
	s_add_u32 s3, s3, s8
	s_mul_i32 s7, s2, s7
	s_addc_u32 s3, s9, s11
	s_addc_u32 s8, s12, 0
	s_add_u32 s3, s3, s7
	s_addc_u32 s7, 0, s8
	v_add_co_u32 v33, s3, v33, s3
	s_delay_alu instid0(VALU_DEP_1) | instskip(SKIP_1) | instid1(VALU_DEP_1)
	s_cmp_lg_u32 s3, 0
	s_addc_u32 s2, s2, s7
	v_readfirstlane_b32 s3, v33
	s_mul_i32 s7, s5, s2
	s_delay_alu instid0(VALU_DEP_1)
	s_mul_hi_u32 s8, s5, s3
	s_mul_i32 s6, s6, s3
	s_add_i32 s7, s8, s7
	s_mul_i32 s5, s5, s3
	s_add_i32 s7, s7, s6
	s_mul_hi_u32 s8, s2, s5
	s_mul_i32 s9, s2, s5
	s_mul_hi_u32 s5, s3, s5
	s_mul_hi_u32 s10, s3, s7
	s_mul_i32 s3, s3, s7
	s_mul_hi_u32 s6, s2, s7
	s_add_u32 s3, s5, s3
	s_addc_u32 s5, 0, s10
	s_add_u32 s3, s3, s9
	s_mul_i32 s7, s2, s7
	s_addc_u32 s3, s5, s8
	s_addc_u32 s5, s6, 0
	s_add_u32 s3, s3, s7
	s_addc_u32 s5, 0, s5
	v_add_co_u32 v33, s3, v33, s3
	s_delay_alu instid0(VALU_DEP_1) | instskip(SKIP_1) | instid1(VALU_DEP_1)
	s_cmp_lg_u32 s3, 0
	s_addc_u32 s2, s2, s5
	v_readfirstlane_b32 s3, v33
	s_mul_i32 s6, s36, s2
	s_mul_hi_u32 s5, s36, s2
	s_mul_hi_u32 s7, s37, s2
	s_mul_i32 s2, s37, s2
	s_mul_hi_u32 s8, s36, s3
	s_mul_hi_u32 s9, s37, s3
	s_mul_i32 s3, s37, s3
	s_add_u32 s6, s8, s6
	s_addc_u32 s5, 0, s5
	s_add_u32 s3, s6, s3
	s_addc_u32 s3, s5, s9
	s_addc_u32 s5, s7, 0
	s_add_u32 s3, s3, s2
	s_addc_u32 s5, 0, s5
	s_mul_hi_u32 s2, s38, s3
	s_mul_i32 s7, s38, s5
	s_mul_i32 s8, s38, s3
	s_add_i32 s2, s2, s7
	v_sub_co_u32 v33, s7, s36, s8
	s_mul_i32 s6, s39, s3
	s_delay_alu instid0(SALU_CYCLE_1) | instskip(NEXT) | instid1(VALU_DEP_1)
	s_add_i32 s2, s2, s6
	v_sub_co_u32 v34, s8, v33, s38
	s_sub_i32 s6, s37, s2
	s_cmp_lg_u32 s7, 0
	s_subb_u32 s6, s6, s39
	s_cmp_lg_u32 s8, 0
	v_cmp_le_u32_e32 vcc_lo, s38, v34
	s_subb_u32 s6, s6, 0
	s_delay_alu instid0(SALU_CYCLE_1)
	s_cmp_ge_u32 s6, s39
	v_cndmask_b32_e64 v34, 0, -1, vcc_lo
	s_cselect_b32 s8, -1, 0
	s_cmp_eq_u32 s6, s39
	s_cselect_b32 vcc_lo, -1, 0
	s_add_u32 s6, s3, 1
	v_cndmask_b32_e32 v34, s8, v34, vcc_lo
	s_addc_u32 s8, s5, 0
	s_add_u32 s9, s3, 2
	s_addc_u32 s10, s5, 0
	s_cmp_lg_u32 s7, 0
	v_cmp_le_u32_e32 vcc_lo, s38, v33
	s_subb_u32 s2, s37, s2
	v_mov_b32_e32 v52, s9
	s_cmp_ge_u32 s2, s39
	v_cndmask_b32_e64 v33, 0, -1, vcc_lo
	s_cselect_b32 s7, -1, 0
	s_cmp_eq_u32 s2, s39
	v_cmp_ne_u32_e32 vcc_lo, 0, v34
	v_mov_b32_e32 v34, s10
	s_cselect_b32 s2, -1, 0
	s_delay_alu instid0(SALU_CYCLE_1) | instskip(SKIP_1) | instid1(VALU_DEP_3)
	v_cndmask_b32_e64 v33, s7, v33, s2
	v_cndmask_b32_e32 v52, s6, v52, vcc_lo
	v_cndmask_b32_e32 v34, s8, v34, vcc_lo
	s_delay_alu instid0(VALU_DEP_3) | instskip(NEXT) | instid1(VALU_DEP_2)
	v_cmp_ne_u32_e32 vcc_lo, 0, v33
	v_cndmask_b32_e32 v34, s5, v34, vcc_lo
	s_delay_alu instid0(VALU_DEP_4)
	v_cndmask_b32_e32 v33, s3, v52, vcc_lo
	s_and_not1_b32 vcc_lo, exec_lo, s4
	s_cbranch_vccnz .LBB32_250
.LBB32_249:
	v_cvt_f32_u32_e32 v33, s38
	s_sub_i32 s3, 0, s38
	s_delay_alu instid0(VALU_DEP_1) | instskip(SKIP_2) | instid1(VALU_DEP_1)
	v_rcp_iflag_f32_e32 v33, v33
	s_waitcnt_depctr 0xfff
	v_mul_f32_e32 v33, 0x4f7ffffe, v33
	v_cvt_u32_f32_e32 v33, v33
	s_delay_alu instid0(VALU_DEP_1) | instskip(NEXT) | instid1(VALU_DEP_1)
	v_readfirstlane_b32 s2, v33
	s_mul_i32 s3, s3, s2
	s_delay_alu instid0(SALU_CYCLE_1) | instskip(NEXT) | instid1(SALU_CYCLE_1)
	s_mul_hi_u32 s3, s2, s3
	s_add_i32 s2, s2, s3
	s_delay_alu instid0(SALU_CYCLE_1) | instskip(NEXT) | instid1(SALU_CYCLE_1)
	s_mul_hi_u32 s2, s36, s2
	s_mul_i32 s3, s2, s38
	s_add_i32 s4, s2, 1
	s_sub_i32 s3, s36, s3
	s_delay_alu instid0(SALU_CYCLE_1)
	s_sub_i32 s5, s3, s38
	s_cmp_ge_u32 s3, s38
	s_cselect_b32 s2, s4, s2
	s_cselect_b32 s3, s5, s3
	s_add_i32 s4, s2, 1
	s_cmp_ge_u32 s3, s38
	s_mov_b32 s3, 0
	s_cselect_b32 s2, s4, s2
	s_delay_alu instid0(SALU_CYCLE_1)
	v_dual_mov_b32 v34, s3 :: v_dual_mov_b32 v33, s2
.LBB32_250:
	v_lshlrev_b32_e32 v52, 3, v0
	s_mov_b32 s2, exec_lo
	s_waitcnt lgkmcnt(0)
	ds_store_b64 v52, v[7:8] offset:33792
	s_waitcnt lgkmcnt(0)
	s_barrier
	buffer_gl0_inv
	v_cmpx_ne_u32_e32 0, v0
	s_cbranch_execz .LBB32_252
; %bb.251:
	ds_load_b64 v[33:34], v52 offset:33784
.LBB32_252:
	s_or_b32 exec_lo, exec_lo, s2
	v_lshlrev_b32_e32 v52, 2, v0
	s_waitcnt lgkmcnt(0)
	s_barrier
	buffer_gl0_inv
	v_lshlrev_b32_e32 v69, 2, v38
	v_add_co_u32 v52, s2, s31, v52
	s_delay_alu instid0(VALU_DEP_1) | instskip(SKIP_1) | instid1(VALU_DEP_3)
	v_add_co_ci_u32_e64 v53, null, s33, 0, s2
	v_cmp_ne_u64_e64 s2, v[5:6], v[7:8]
	v_add_co_u32 v54, vcc_lo, 0x1000, v52
	s_delay_alu instid0(VALU_DEP_3)
	v_add_co_ci_u32_e32 v55, vcc_lo, 0, v53, vcc_lo
	s_clause 0x7
	flat_load_b32 v56, v[52:53]
	flat_load_b32 v57, v[52:53] offset:1024
	flat_load_b32 v58, v[52:53] offset:2048
	;; [unrolled: 1-line block ×3, first 2 shown]
	flat_load_b32 v60, v[54:55]
	flat_load_b32 v61, v[54:55] offset:1024
	flat_load_b32 v62, v[54:55] offset:2048
	;; [unrolled: 1-line block ×3, first 2 shown]
	v_add_co_u32 v54, vcc_lo, 0x2000, v52
	v_add_co_ci_u32_e32 v55, vcc_lo, 0, v53, vcc_lo
	v_add_co_u32 v52, vcc_lo, 0x3000, v52
	v_add_co_ci_u32_e32 v53, vcc_lo, 0, v53, vcc_lo
	s_clause 0x7
	flat_load_b32 v64, v[54:55]
	flat_load_b32 v65, v[54:55] offset:1024
	flat_load_b32 v66, v[54:55] offset:2048
	;; [unrolled: 1-line block ×3, first 2 shown]
	flat_load_b32 v55, v[52:53]
	flat_load_b32 v67, v[52:53] offset:1024
	flat_load_b32 v68, v[52:53] offset:2048
	;; [unrolled: 1-line block ×3, first 2 shown]
	v_cmp_ne_u64_e32 vcc_lo, v[33:34], v[29:30]
	v_lshlrev_b32_e32 v8, 2, v36
	v_lshlrev_b32_e32 v7, 2, v35
	v_lshlrev_b32_e32 v35, 2, v40
	v_lshlrev_b32_e32 v71, 2, v42
	v_lshlrev_b32_e32 v70, 2, v44
	v_cndmask_b32_e64 v36, 0, 1, vcc_lo
	v_cmp_ne_u64_e32 vcc_lo, v[29:30], v[31:32]
	v_lshlrev_b32_e32 v72, 2, v46
	v_lshlrev_b32_e32 v73, 2, v48
	v_lshlrev_b32_e32 v74, 2, v50
	v_lshlrev_b32_e32 v37, 2, v37
	v_lshlrev_b32_e32 v39, 2, v39
	v_cndmask_b32_e64 v38, 0, 1, vcc_lo
	;; [unrolled: 7-line block ×3, first 2 shown]
	v_cmp_ne_u64_e32 vcc_lo, v[25:26], v[27:28]
	v_lshlrev_b32_e32 v51, 2, v51
	s_mov_b32 s3, -1
                                        ; implicit-def: $sgpr4_sgpr5
	s_waitcnt vmcnt(15) lgkmcnt(15)
	ds_store_b32 v7, v56
	s_waitcnt vmcnt(14) lgkmcnt(15)
	ds_store_b32 v8, v57 offset:1024
	s_waitcnt vmcnt(13) lgkmcnt(15)
	ds_store_b32 v35, v58 offset:2048
	;; [unrolled: 2-line block ×15, first 2 shown]
	v_cndmask_b32_e64 v42, 0, 1, vcc_lo
	v_cmp_ne_u64_e32 vcc_lo, v[27:28], v[21:22]
	s_waitcnt lgkmcnt(0)
	s_barrier
	buffer_gl0_inv
	v_cndmask_b32_e64 v44, 0, 1, vcc_lo
	v_cmp_ne_u64_e32 vcc_lo, v[21:22], v[23:24]
	v_cndmask_b32_e64 v46, 0, 1, vcc_lo
	v_cmp_ne_u64_e32 vcc_lo, v[23:24], v[17:18]
	;; [unrolled: 2-line block ×3, first 2 shown]
	ds_load_2addr_b32 v[7:8], v74 offset1:1
	ds_load_2addr_b32 v[17:18], v74 offset0:2 offset1:3
	v_cndmask_b32_e64 v50, 0, 1, vcc_lo
	v_cmp_ne_u64_e32 vcc_lo, v[19:20], v[13:14]
	v_cndmask_b32_e64 v52, 0, 1, vcc_lo
	v_cmp_ne_u64_e32 vcc_lo, v[13:14], v[15:16]
	ds_load_2addr_b32 v[13:14], v74 offset0:4 offset1:5
	ds_load_2addr_b32 v[19:20], v74 offset0:6 offset1:7
	v_cndmask_b32_e64 v54, 0, 1, vcc_lo
	v_cmp_ne_u64_e32 vcc_lo, v[15:16], v[9:10]
	s_waitcnt lgkmcnt(3)
	v_mov_b32_e32 v35, v7
	v_mov_b32_e32 v37, v8
	s_waitcnt lgkmcnt(2)
	v_mov_b32_e32 v39, v17
	v_mov_b32_e32 v41, v18
	v_cndmask_b32_e64 v56, 0, 1, vcc_lo
	v_cmp_ne_u64_e32 vcc_lo, v[9:10], v[11:12]
	s_waitcnt lgkmcnt(1)
	v_mov_b32_e32 v43, v13
	ds_load_2addr_b32 v[15:16], v74 offset0:8 offset1:9
	ds_load_2addr_b32 v[21:22], v74 offset0:10 offset1:11
	;; [unrolled: 1-line block ×4, first 2 shown]
	v_cndmask_b32_e64 v58, 0, 1, vcc_lo
	v_cmp_ne_u64_e32 vcc_lo, v[11:12], v[1:2]
	v_mov_b32_e32 v45, v14
	s_waitcnt lgkmcnt(4)
	v_mov_b32_e32 v47, v19
	v_mov_b32_e32 v49, v20
	v_cndmask_b32_e64 v60, 0, 1, vcc_lo
	v_cmp_ne_u64_e32 vcc_lo, v[1:2], v[3:4]
	v_cndmask_b32_e64 v62, 0, 1, vcc_lo
	v_cmp_ne_u64_e32 vcc_lo, v[3:4], v[5:6]
	s_waitcnt lgkmcnt(3)
	v_mov_b32_e32 v51, v15
	v_mov_b32_e32 v53, v16
	s_waitcnt lgkmcnt(2)
	v_mov_b32_e32 v55, v21
	v_mov_b32_e32 v57, v22
	v_cndmask_b32_e64 v64, 0, 1, vcc_lo
	s_waitcnt lgkmcnt(1)
	v_mov_b32_e32 v59, v9
	v_mov_b32_e32 v61, v10
	s_waitcnt lgkmcnt(0)
	v_mov_b32_e32 v63, v65
.LBB32_253:
	v_dual_mov_b32 v7, s5 :: v_dual_mov_b32 v6, s4
	s_and_saveexec_b32 s4, s3
	s_cbranch_execz .LBB32_255
; %bb.254:
	v_cndmask_b32_e64 v7, 0, 1, s2
	s_waitcnt lgkmcnt(0)
	v_mov_b32_e32 v6, v66
.LBB32_255:
	s_or_b32 exec_lo, exec_lo, s4
	s_load_b64 s[26:27], s[0:1], 0x20
	v_or3_b32 v13, v7, v64, v62
	v_lshrrev_b32_e32 v12, 5, v0
	v_cmp_gt_u32_e32 vcc_lo, 32, v0
	s_cmp_lg_u32 s15, 0
	s_mov_b32 s16, 0
	s_waitcnt lgkmcnt(0)
	s_barrier
	buffer_gl0_inv
	s_cbranch_scc0 .LBB32_292
; %bb.256:
	s_mov_b32 s17, 1
	v_or3_b32 v2, v13, v60, v58
	v_cmp_gt_u64_e64 s0, s[16:17], v[37:38]
	v_cmp_gt_u64_e64 s1, s[16:17], v[39:40]
	;; [unrolled: 1-line block ×6, first 2 shown]
	v_cndmask_b32_e64 v1, 0, v35, s0
	v_cmp_gt_u64_e64 s6, s[16:17], v[49:50]
	v_cmp_gt_u64_e64 s7, s[16:17], v[51:52]
	;; [unrolled: 1-line block ×4, first 2 shown]
	v_add_nc_u32_e32 v1, v1, v37
	v_cmp_gt_u64_e64 s10, s[16:17], v[57:58]
	v_cmp_gt_u64_e64 s11, s[16:17], v[59:60]
	v_or3_b32 v2, v2, v56, v54
	v_cmp_gt_u64_e64 s12, s[16:17], v[61:62]
	v_cndmask_b32_e64 v1, 0, v1, s1
	v_cmp_gt_u64_e64 s13, s[16:17], v[63:64]
	v_cmp_gt_u64_e64 s14, s[16:17], v[6:7]
	v_or3_b32 v2, v2, v52, v50
	v_add_lshl_u32 v3, v12, v0, 3
	v_add_nc_u32_e32 v1, v1, v39
	s_delay_alu instid0(VALU_DEP_3) | instskip(NEXT) | instid1(VALU_DEP_2)
	v_or3_b32 v2, v2, v48, v46
	v_cndmask_b32_e64 v1, 0, v1, s2
	s_delay_alu instid0(VALU_DEP_2) | instskip(NEXT) | instid1(VALU_DEP_2)
	v_or3_b32 v2, v2, v44, v42
	v_add_nc_u32_e32 v1, v1, v41
	s_delay_alu instid0(VALU_DEP_2) | instskip(NEXT) | instid1(VALU_DEP_2)
	v_or3_b32 v2, v2, v40, v38
	v_cndmask_b32_e64 v1, 0, v1, s3
	s_delay_alu instid0(VALU_DEP_2) | instskip(NEXT) | instid1(VALU_DEP_2)
	v_and_b32_e32 v2, 1, v2
	v_add_nc_u32_e32 v1, v1, v43
	s_delay_alu instid0(VALU_DEP_2) | instskip(NEXT) | instid1(VALU_DEP_2)
	v_cmp_eq_u32_e64 s16, 1, v2
	v_cndmask_b32_e64 v1, 0, v1, s4
	s_delay_alu instid0(VALU_DEP_2) | instskip(NEXT) | instid1(VALU_DEP_2)
	v_cndmask_b32_e64 v15, v36, 1, s16
	v_add_nc_u32_e32 v1, v1, v45
	s_delay_alu instid0(VALU_DEP_1) | instskip(NEXT) | instid1(VALU_DEP_1)
	v_cndmask_b32_e64 v1, 0, v1, s5
	v_add_nc_u32_e32 v1, v1, v47
	s_delay_alu instid0(VALU_DEP_1) | instskip(NEXT) | instid1(VALU_DEP_1)
	;; [unrolled: 3-line block ×10, first 2 shown]
	v_cndmask_b32_e64 v1, 0, v1, s14
	v_add_nc_u32_e32 v14, v1, v6
	ds_store_b32 v3, v14
	ds_store_b8 v3, v15 offset:4
	s_waitcnt lgkmcnt(0)
	s_barrier
	buffer_gl0_inv
	s_and_saveexec_b32 s17, vcc_lo
	s_cbranch_execz .LBB32_266
; %bb.257:
	v_lshlrev_b32_e32 v1, 1, v0
	s_mov_b32 s18, exec_lo
	s_delay_alu instid0(VALU_DEP_1) | instskip(NEXT) | instid1(VALU_DEP_1)
	v_and_b32_e32 v1, 0x1f8, v1
	v_lshl_or_b32 v3, v0, 6, v1
	ds_load_u8 v10, v3 offset:12
	ds_load_b64 v[1:2], v3
	ds_load_u8 v11, v3 offset:20
	ds_load_2addr_b32 v[4:5], v3 offset0:2 offset1:4
	ds_load_u8 v16, v3 offset:28
	ds_load_u8 v17, v3 offset:36
	;; [unrolled: 1-line block ×4, first 2 shown]
	ds_load_b32 v20, v3 offset:56
	ds_load_u8 v21, v3 offset:60
	s_waitcnt lgkmcnt(9)
	v_and_b32_e32 v8, 0xff, v10
	s_waitcnt lgkmcnt(7)
	v_and_b32_e32 v23, 0xff, v11
	s_delay_alu instid0(VALU_DEP_2)
	v_cmp_eq_u16_e64 s16, 0, v8
	ds_load_2addr_b32 v[8:9], v3 offset0:6 offset1:8
	s_waitcnt lgkmcnt(5)
	v_and_b32_e32 v24, 0xff, v17
	v_cndmask_b32_e64 v22, 0, v1, s16
	v_cmp_eq_u16_e64 s16, 0, v23
	s_delay_alu instid0(VALU_DEP_2) | instskip(SKIP_1) | instid1(VALU_DEP_2)
	v_add_nc_u32_e32 v4, v22, v4
	v_and_b32_e32 v22, 0xff, v16
	v_cndmask_b32_e64 v4, 0, v4, s16
	s_delay_alu instid0(VALU_DEP_2) | instskip(NEXT) | instid1(VALU_DEP_2)
	v_cmp_eq_u16_e64 s16, 0, v22
	v_add_nc_u32_e32 v4, v4, v5
	s_waitcnt lgkmcnt(1)
	v_or_b32_e32 v5, v21, v19
	s_delay_alu instid0(VALU_DEP_2) | instskip(NEXT) | instid1(VALU_DEP_2)
	v_cndmask_b32_e64 v22, 0, v4, s16
	v_or_b32_e32 v23, v5, v18
	ds_load_2addr_b32 v[4:5], v3 offset0:10 offset1:12
	v_cmp_eq_u16_e64 s16, 0, v24
	s_waitcnt lgkmcnt(1)
	v_add_nc_u32_e32 v8, v22, v8
	v_or_b32_e32 v17, v23, v17
	s_delay_alu instid0(VALU_DEP_2) | instskip(NEXT) | instid1(VALU_DEP_2)
	v_cndmask_b32_e64 v8, 0, v8, s16
	v_or_b32_e32 v16, v17, v16
	v_and_b32_e32 v17, 0xff, v18
	s_delay_alu instid0(VALU_DEP_3) | instskip(NEXT) | instid1(VALU_DEP_3)
	v_add_nc_u32_e32 v8, v8, v9
	v_or_b32_e32 v9, v16, v11
	s_delay_alu instid0(VALU_DEP_3) | instskip(NEXT) | instid1(VALU_DEP_2)
	v_cmp_eq_u16_e64 s16, 0, v17
	v_or_b32_e32 v9, v9, v10
	s_delay_alu instid0(VALU_DEP_2) | instskip(SKIP_1) | instid1(VALU_DEP_3)
	v_cndmask_b32_e64 v8, 0, v8, s16
	v_and_b32_e32 v10, 0xff, v19
	v_and_b32_e32 v9, 1, v9
	s_waitcnt lgkmcnt(0)
	s_delay_alu instid0(VALU_DEP_3) | instskip(NEXT) | instid1(VALU_DEP_3)
	v_add_nc_u32_e32 v8, v8, v4
	v_cmp_eq_u16_e64 s16, 0, v10
	v_and_b32_e32 v4, 1, v2
	s_delay_alu instid0(VALU_DEP_2) | instskip(SKIP_2) | instid1(VALU_DEP_3)
	v_cndmask_b32_e64 v8, 0, v8, s16
	v_cmp_eq_u32_e64 s16, 1, v9
	v_mbcnt_lo_u32_b32 v9, -1, 0
	v_add_nc_u32_e32 v8, v8, v5
	s_delay_alu instid0(VALU_DEP_3) | instskip(SKIP_2) | instid1(VALU_DEP_3)
	v_cndmask_b32_e64 v10, v4, 1, s16
	v_cmp_eq_u16_e64 s16, 0, v21
	v_and_b32_e32 v5, 0xffffff00, v2
	v_and_b32_e32 v11, 0xffff, v10
	s_delay_alu instid0(VALU_DEP_3) | instskip(NEXT) | instid1(VALU_DEP_2)
	v_cndmask_b32_e64 v8, 0, v8, s16
	v_or_b32_e32 v16, v5, v11
	s_delay_alu instid0(VALU_DEP_2) | instskip(SKIP_1) | instid1(VALU_DEP_3)
	v_add_nc_u32_e32 v8, v8, v20
	v_and_b32_e32 v11, 15, v9
	v_mov_b32_dpp v18, v16 row_shr:1 row_mask:0xf bank_mask:0xf
	s_delay_alu instid0(VALU_DEP_3) | instskip(NEXT) | instid1(VALU_DEP_3)
	v_mov_b32_dpp v17, v8 row_shr:1 row_mask:0xf bank_mask:0xf
	v_cmpx_ne_u32_e32 0, v11
; %bb.258:
	v_and_b32_e32 v16, 1, v10
	s_delay_alu instid0(VALU_DEP_4) | instskip(NEXT) | instid1(VALU_DEP_2)
	v_and_b32_e32 v18, 1, v18
	v_cmp_eq_u32_e64 s16, 1, v16
	s_delay_alu instid0(VALU_DEP_1) | instskip(SKIP_1) | instid1(VALU_DEP_2)
	v_cndmask_b32_e64 v18, v18, 1, s16
	v_cmp_eq_u16_e64 s16, 0, v10
	v_and_b32_e32 v16, 0xffff, v18
	s_delay_alu instid0(VALU_DEP_2) | instskip(NEXT) | instid1(VALU_DEP_2)
	v_cndmask_b32_e64 v10, 0, v17, s16
	v_or_b32_e32 v16, v5, v16
	s_delay_alu instid0(VALU_DEP_2)
	v_add_nc_u32_e32 v8, v10, v8
	v_mov_b32_e32 v10, v18
; %bb.259:
	s_or_b32 exec_lo, exec_lo, s18
	s_delay_alu instid0(VALU_DEP_2)
	v_mov_b32_dpp v17, v8 row_shr:2 row_mask:0xf bank_mask:0xf
	v_mov_b32_dpp v18, v16 row_shr:2 row_mask:0xf bank_mask:0xf
	s_mov_b32 s18, exec_lo
	v_cmpx_lt_u32_e32 1, v11
; %bb.260:
	v_and_b32_e32 v16, 1, v10
	s_delay_alu instid0(VALU_DEP_3) | instskip(NEXT) | instid1(VALU_DEP_2)
	v_and_b32_e32 v18, 1, v18
	v_cmp_eq_u32_e64 s16, 1, v16
	s_delay_alu instid0(VALU_DEP_1) | instskip(SKIP_1) | instid1(VALU_DEP_2)
	v_cndmask_b32_e64 v18, v18, 1, s16
	v_cmp_eq_u16_e64 s16, 0, v10
	v_and_b32_e32 v16, 0xffff, v18
	s_delay_alu instid0(VALU_DEP_2) | instskip(NEXT) | instid1(VALU_DEP_2)
	v_cndmask_b32_e64 v10, 0, v17, s16
	v_or_b32_e32 v16, v5, v16
	s_delay_alu instid0(VALU_DEP_2)
	v_add_nc_u32_e32 v8, v10, v8
	v_mov_b32_e32 v10, v18
; %bb.261:
	s_or_b32 exec_lo, exec_lo, s18
	s_delay_alu instid0(VALU_DEP_2)
	v_mov_b32_dpp v17, v8 row_shr:4 row_mask:0xf bank_mask:0xf
	v_mov_b32_dpp v18, v16 row_shr:4 row_mask:0xf bank_mask:0xf
	s_mov_b32 s18, exec_lo
	v_cmpx_lt_u32_e32 3, v11
; %bb.262:
	v_and_b32_e32 v16, 1, v10
	s_delay_alu instid0(VALU_DEP_3) | instskip(NEXT) | instid1(VALU_DEP_2)
	;; [unrolled: 22-line block ×3, first 2 shown]
	v_and_b32_e32 v16, 1, v18
	v_cmp_eq_u32_e64 s16, 1, v11
	s_delay_alu instid0(VALU_DEP_1) | instskip(SKIP_1) | instid1(VALU_DEP_2)
	v_cndmask_b32_e64 v11, v16, 1, s16
	v_cmp_eq_u16_e64 s16, 0, v10
	v_and_b32_e32 v16, 0xffff, v11
	s_delay_alu instid0(VALU_DEP_2) | instskip(NEXT) | instid1(VALU_DEP_2)
	v_cndmask_b32_e64 v10, 0, v17, s16
	v_or_b32_e32 v16, v5, v16
	s_delay_alu instid0(VALU_DEP_2)
	v_add_nc_u32_e32 v8, v10, v8
	v_mov_b32_e32 v10, v11
; %bb.265:
	s_or_b32 exec_lo, exec_lo, s18
	ds_swizzle_b32 v11, v16 offset:swizzle(BROADCAST,32,15)
	ds_swizzle_b32 v16, v8 offset:swizzle(BROADCAST,32,15)
	v_and_b32_e32 v17, 1, v10
	v_and_b32_e32 v18, 16, v9
	v_bfe_i32 v19, v9, 4, 1
	v_and_b32_e32 v2, 0xff, v2
	s_delay_alu instid0(VALU_DEP_4) | instskip(SKIP_3) | instid1(VALU_DEP_1)
	v_cmp_eq_u32_e64 s16, 1, v17
	v_add_nc_u32_e32 v17, -1, v9
	; wave barrier
	s_waitcnt lgkmcnt(1)
	v_and_b32_e32 v11, 1, v11
	v_cndmask_b32_e64 v11, v11, 1, s16
	v_cmp_eq_u16_e64 s16, 0, v10
	s_waitcnt lgkmcnt(0)
	s_delay_alu instid0(VALU_DEP_1) | instskip(SKIP_1) | instid1(VALU_DEP_1)
	v_cndmask_b32_e64 v16, 0, v16, s16
	v_cmp_eq_u32_e64 s16, 0, v18
	v_cndmask_b32_e64 v10, v11, v10, s16
	v_cmp_gt_i32_e64 s16, 0, v17
	s_delay_alu instid0(VALU_DEP_4) | instskip(NEXT) | instid1(VALU_DEP_3)
	v_and_b32_e32 v11, v19, v16
	v_and_b32_e32 v10, 0xffff, v10
	s_delay_alu instid0(VALU_DEP_3) | instskip(NEXT) | instid1(VALU_DEP_3)
	v_cndmask_b32_e64 v9, v17, v9, s16
	v_add_nc_u32_e32 v8, v11, v8
	v_cmp_eq_u16_e64 s16, 0, v2
	s_delay_alu instid0(VALU_DEP_4) | instskip(NEXT) | instid1(VALU_DEP_4)
	v_or_b32_e32 v5, v5, v10
	v_lshlrev_b32_e32 v9, 2, v9
	ds_bpermute_b32 v8, v9, v8
	ds_bpermute_b32 v5, v9, v5
	s_waitcnt lgkmcnt(1)
	v_cndmask_b32_e64 v2, 0, v8, s16
	s_waitcnt lgkmcnt(0)
	v_and_b32_e32 v5, 1, v5
	v_cmp_eq_u32_e64 s16, 1, v4
	s_delay_alu instid0(VALU_DEP_3) | instskip(NEXT) | instid1(VALU_DEP_2)
	v_add_nc_u32_e32 v1, v2, v1
	v_cndmask_b32_e64 v2, v5, 1, s16
	v_cmp_eq_u32_e64 s16, 0, v0
	s_delay_alu instid0(VALU_DEP_1) | instskip(NEXT) | instid1(VALU_DEP_3)
	v_cndmask_b32_e64 v4, v1, v14, s16
	v_cndmask_b32_e64 v8, v2, v15, s16
	ds_store_b32 v3, v4
	ds_store_b8 v3, v8 offset:4
	; wave barrier
	ds_load_u8 v9, v3 offset:12
	ds_load_2addr_b32 v[1:2], v3 offset0:2 offset1:4
	ds_load_u8 v10, v3 offset:20
	ds_load_u8 v11, v3 offset:28
	;; [unrolled: 1-line block ×5, first 2 shown]
	ds_load_b32 v19, v3 offset:56
	ds_load_u8 v20, v3 offset:60
	s_waitcnt lgkmcnt(8)
	v_cmp_eq_u16_e64 s16, 0, v9
	v_and_b32_e32 v9, 1, v9
	s_delay_alu instid0(VALU_DEP_2)
	v_cndmask_b32_e64 v21, 0, v4, s16
	ds_load_2addr_b32 v[4:5], v3 offset0:6 offset1:8
	s_waitcnt lgkmcnt(7)
	v_cmp_eq_u16_e64 s16, 0, v10
	v_and_b32_e32 v10, 1, v10
	v_add_nc_u32_e32 v21, v21, v1
	s_delay_alu instid0(VALU_DEP_1) | instskip(SKIP_2) | instid1(VALU_DEP_2)
	v_cndmask_b32_e64 v1, 0, v21, s16
	s_waitcnt lgkmcnt(6)
	v_cmp_eq_u16_e64 s16, 0, v11
	v_add_nc_u32_e32 v22, v1, v2
	ds_load_2addr_b32 v[1:2], v3 offset0:10 offset1:12
	v_cndmask_b32_e64 v23, 0, v22, s16
	s_waitcnt lgkmcnt(6)
	v_cmp_eq_u16_e64 s16, 0, v16
	ds_store_2addr_b32 v3, v21, v22 offset0:2 offset1:4
	s_waitcnt lgkmcnt(2)
	v_add_nc_u32_e32 v4, v23, v4
	s_delay_alu instid0(VALU_DEP_1) | instskip(SKIP_3) | instid1(VALU_DEP_4)
	v_cndmask_b32_e64 v23, 0, v4, s16
	v_cmp_eq_u32_e64 s16, 1, v9
	v_and_b32_e32 v9, 1, v11
	v_and_b32_e32 v11, 1, v16
	v_add_nc_u32_e32 v5, v23, v5
	s_delay_alu instid0(VALU_DEP_4) | instskip(SKIP_2) | instid1(VALU_DEP_2)
	v_cndmask_b32_e64 v8, v8, 1, s16
	v_cmp_eq_u32_e64 s16, 1, v10
	v_and_b32_e32 v23, 1, v20
	v_cndmask_b32_e64 v10, v8, 1, s16
	v_cmp_eq_u16_e64 s16, 0, v17
	v_and_b32_e32 v17, 1, v17
	s_delay_alu instid0(VALU_DEP_2) | instskip(SKIP_2) | instid1(VALU_DEP_2)
	v_cndmask_b32_e64 v16, 0, v5, s16
	v_cmp_eq_u32_e64 s16, 1, v9
	s_waitcnt lgkmcnt(1)
	v_add_nc_u32_e32 v1, v16, v1
	s_delay_alu instid0(VALU_DEP_2) | instskip(SKIP_2) | instid1(VALU_DEP_2)
	v_cndmask_b32_e64 v9, v10, 1, s16
	v_cmp_eq_u32_e64 s16, 1, v11
	v_and_b32_e32 v16, 1, v18
	v_cndmask_b32_e64 v11, v9, 1, s16
	v_cmp_eq_u16_e64 s16, 0, v18
	s_delay_alu instid0(VALU_DEP_1) | instskip(SKIP_1) | instid1(VALU_DEP_2)
	v_cndmask_b32_e64 v18, 0, v1, s16
	v_cmp_eq_u32_e64 s16, 1, v17
	v_add_nc_u32_e32 v2, v18, v2
	s_delay_alu instid0(VALU_DEP_2)
	v_cndmask_b32_e64 v17, v11, 1, s16
	v_cmp_eq_u32_e64 s16, 1, v16
	ds_store_2addr_b32 v3, v4, v5 offset0:6 offset1:8
	ds_store_2addr_b32 v3, v1, v2 offset0:10 offset1:12
	v_cndmask_b32_e64 v16, v17, 1, s16
	v_cmp_eq_u16_e64 s16, 0, v20
	s_delay_alu instid0(VALU_DEP_1) | instskip(SKIP_1) | instid1(VALU_DEP_2)
	v_cndmask_b32_e64 v18, 0, v2, s16
	v_cmp_eq_u32_e64 s16, 1, v23
	v_add_nc_u32_e32 v1, v18, v19
	s_delay_alu instid0(VALU_DEP_2)
	v_cndmask_b32_e64 v20, v16, 1, s16
	ds_store_b8 v3, v8 offset:12
	ds_store_b8 v3, v10 offset:20
	;; [unrolled: 1-line block ×6, first 2 shown]
	ds_store_b32 v3, v1 offset:56
	ds_store_b8 v3, v20 offset:60
.LBB32_266:
	s_or_b32 exec_lo, exec_lo, s17
	v_cmp_eq_u32_e64 s16, 0, v0
	s_mov_b32 s18, exec_lo
	s_waitcnt lgkmcnt(0)
	s_barrier
	buffer_gl0_inv
	v_cmpx_ne_u32_e32 0, v0
	s_cbranch_execz .LBB32_268
; %bb.267:
	v_add_nc_u32_e32 v1, -1, v0
	s_delay_alu instid0(VALU_DEP_1) | instskip(NEXT) | instid1(VALU_DEP_1)
	v_lshrrev_b32_e32 v2, 5, v1
	v_add_lshl_u32 v1, v2, v1, 3
	ds_load_b32 v14, v1
	ds_load_u8 v15, v1 offset:4
.LBB32_268:
	s_or_b32 exec_lo, exec_lo, s18
	s_and_saveexec_b32 s31, vcc_lo
	s_cbranch_execz .LBB32_291
; %bb.269:
	v_mov_b32_e32 v4, 0
	v_mbcnt_lo_u32_b32 v16, -1, 0
	s_mov_b32 s19, 0
	ds_load_b64 v[1:2], v4 offset:2096
	v_cmp_eq_u32_e64 s17, 0, v16
	s_waitcnt lgkmcnt(0)
	v_readfirstlane_b32 s33, v2
	s_delay_alu instid0(VALU_DEP_2)
	s_and_saveexec_b32 s36, s17
	s_cbranch_execz .LBB32_271
; %bb.270:
	s_add_i32 s18, s15, 32
	s_mov_b32 s40, s19
	s_lshl_b64 s[38:39], s[18:19], 4
	s_mov_b32 s42, s19
	s_add_u32 s38, s28, s38
	s_addc_u32 s39, s29, s39
	s_and_b32 s41, s33, 0xff000000
	s_and_b32 s43, s33, 0xff0000
	v_dual_mov_b32 v8, s38 :: v_dual_mov_b32 v9, s39
	s_or_b64 s[40:41], s[42:43], s[40:41]
	s_and_b32 s43, s33, 0xff00
	v_mov_b32_e32 v3, 1
	s_or_b64 s[40:41], s[40:41], s[42:43]
	s_and_b32 s43, s33, 0xff
	s_delay_alu instid0(SALU_CYCLE_1) | instskip(NEXT) | instid1(SALU_CYCLE_1)
	s_or_b64 s[40:41], s[40:41], s[42:43]
	v_mov_b32_e32 v2, s41
	;;#ASMSTART
	global_store_dwordx4 v[8:9], v[1:4] off	
s_waitcnt vmcnt(0)
	;;#ASMEND
.LBB32_271:
	s_or_b32 exec_lo, exec_lo, s36
	v_xad_u32 v8, v16, -1, s15
	s_mov_b32 s18, exec_lo
	s_delay_alu instid0(VALU_DEP_1) | instskip(NEXT) | instid1(VALU_DEP_1)
	v_add_nc_u32_e32 v3, 32, v8
	v_lshlrev_b64 v[2:3], 4, v[3:4]
	s_delay_alu instid0(VALU_DEP_1) | instskip(NEXT) | instid1(VALU_DEP_2)
	v_add_co_u32 v9, vcc_lo, s28, v2
	v_add_co_ci_u32_e32 v10, vcc_lo, s29, v3, vcc_lo
	;;#ASMSTART
	global_load_dwordx4 v[2:5], v[9:10] off glc	
s_waitcnt vmcnt(0)
	;;#ASMEND
	v_and_b32_e32 v5, 0xffff, v2
	v_and_b32_e32 v11, 0xff0000, v2
	;; [unrolled: 1-line block ×4, first 2 shown]
	s_delay_alu instid0(VALU_DEP_3) | instskip(SKIP_1) | instid1(VALU_DEP_3)
	v_or_b32_e32 v5, v5, v11
	v_and_b32_e32 v11, 0xff, v4
	v_or3_b32 v3, 0, 0, v3
	s_delay_alu instid0(VALU_DEP_3) | instskip(NEXT) | instid1(VALU_DEP_3)
	v_or3_b32 v2, v5, v2, 0
	v_cmpx_eq_u16_e32 0, v11
	s_cbranch_execz .LBB32_277
; %bb.272:
	s_mov_b32 s36, 1
	.p2align	6
.LBB32_273:                             ; =>This Loop Header: Depth=1
                                        ;     Child Loop BB32_274 Depth 2
	s_delay_alu instid0(SALU_CYCLE_1)
	s_max_u32 s37, s36, 1
.LBB32_274:                             ;   Parent Loop BB32_273 Depth=1
                                        ; =>  This Inner Loop Header: Depth=2
	s_delay_alu instid0(SALU_CYCLE_1)
	s_add_i32 s37, s37, -1
	s_sleep 1
	s_cmp_eq_u32 s37, 0
	s_cbranch_scc0 .LBB32_274
; %bb.275:                              ;   in Loop: Header=BB32_273 Depth=1
	;;#ASMSTART
	global_load_dwordx4 v[2:5], v[9:10] off glc	
s_waitcnt vmcnt(0)
	;;#ASMEND
	v_and_b32_e32 v5, 0xff, v4
	s_cmp_lt_u32 s36, 32
	s_cselect_b32 s37, -1, 0
	s_delay_alu instid0(SALU_CYCLE_1) | instskip(NEXT) | instid1(VALU_DEP_1)
	s_cmp_lg_u32 s37, 0
	v_cmp_ne_u16_e32 vcc_lo, 0, v5
	s_addc_u32 s36, s36, 0
	s_or_b32 s19, vcc_lo, s19
	s_delay_alu instid0(SALU_CYCLE_1)
	s_and_not1_b32 exec_lo, exec_lo, s19
	s_cbranch_execnz .LBB32_273
; %bb.276:
	s_or_b32 exec_lo, exec_lo, s19
	v_and_b32_e32 v3, 0xff, v3
.LBB32_277:
	s_or_b32 exec_lo, exec_lo, s18
	v_cmp_ne_u32_e32 vcc_lo, 31, v16
	v_and_b32_e32 v9, 0xff, v4
	v_lshlrev_b32_e64 v18, v16, -1
	s_mov_b32 s36, 0
	s_mov_b32 s37, 1
	v_add_co_ci_u32_e32 v5, vcc_lo, 0, v16, vcc_lo
	v_cmp_eq_u16_e32 vcc_lo, 2, v9
	v_and_b32_e32 v9, 1, v3
	v_cmp_gt_u64_e64 s18, s[36:37], v[2:3]
	s_delay_alu instid0(VALU_DEP_4)
	v_lshlrev_b32_e32 v17, 2, v5
	v_add_nc_u32_e32 v28, 16, v16
	v_and_or_b32 v10, vcc_lo, v18, 0x80000000
	v_cmp_gt_u32_e32 vcc_lo, 30, v16
	ds_bpermute_b32 v5, v17, v3
	v_cndmask_b32_e64 v11, 0, 1, vcc_lo
	v_cmp_eq_u32_e32 vcc_lo, 1, v9
	v_ctz_i32_b32_e32 v9, v10
	s_waitcnt lgkmcnt(0)
	v_and_b32_e32 v5, 1, v5
	s_delay_alu instid0(VALU_DEP_1) | instskip(NEXT) | instid1(VALU_DEP_3)
	v_cndmask_b32_e64 v5, v5, 1, vcc_lo
	v_cmp_lt_u32_e32 vcc_lo, v16, v9
	v_lshlrev_b32_e32 v10, 1, v11
	s_delay_alu instid0(VALU_DEP_3) | instskip(SKIP_1) | instid1(VALU_DEP_3)
	v_and_b32_e32 v20, 0xffff, v5
	v_cndmask_b32_e32 v5, v3, v5, vcc_lo
	v_add_lshl_u32 v19, v10, v16, 2
	s_delay_alu instid0(VALU_DEP_3)
	v_cndmask_b32_e32 v10, v3, v20, vcc_lo
	ds_bpermute_b32 v11, v17, v2
	s_and_b32 vcc_lo, vcc_lo, s18
	v_and_b32_e32 v23, 0xff, v5
	ds_bpermute_b32 v20, v19, v10
	v_cmp_eq_u16_e64 s18, 0, v23
	s_waitcnt lgkmcnt(1)
	v_cndmask_b32_e32 v3, 0, v11, vcc_lo
	v_and_b32_e32 v11, 1, v5
	v_cmp_gt_u32_e32 vcc_lo, 28, v16
	s_waitcnt lgkmcnt(0)
	v_and_b32_e32 v20, 1, v20
	v_add_nc_u32_e32 v2, v3, v2
	v_cndmask_b32_e64 v21, 0, 1, vcc_lo
	v_cmp_eq_u32_e32 vcc_lo, 1, v11
	ds_bpermute_b32 v3, v19, v2
	v_lshlrev_b32_e32 v21, 2, v21
	v_cndmask_b32_e64 v11, v20, 1, vcc_lo
	v_add_nc_u32_e32 v20, 2, v16
	s_delay_alu instid0(VALU_DEP_3) | instskip(NEXT) | instid1(VALU_DEP_3)
	v_add_lshl_u32 v21, v21, v16, 2
	v_and_b32_e32 v22, 0xffff, v11
	s_delay_alu instid0(VALU_DEP_3) | instskip(NEXT) | instid1(VALU_DEP_2)
	v_cmp_gt_u32_e32 vcc_lo, v20, v9
	v_dual_cndmask_b32 v10, v22, v10 :: v_dual_cndmask_b32 v5, v11, v5
	v_add_nc_u32_e32 v22, 4, v16
	ds_bpermute_b32 v11, v21, v10
	s_waitcnt lgkmcnt(1)
	v_cndmask_b32_e64 v3, 0, v3, s18
	v_and_b32_e32 v23, 1, v5
	s_delay_alu instid0(VALU_DEP_2) | instskip(SKIP_1) | instid1(VALU_DEP_2)
	v_cndmask_b32_e64 v3, v3, 0, vcc_lo
	v_cmp_gt_u32_e32 vcc_lo, 24, v16
	v_add_nc_u32_e32 v2, v3, v2
	v_cndmask_b32_e64 v24, 0, 1, vcc_lo
	v_cmp_eq_u32_e32 vcc_lo, 1, v23
	v_and_b32_e32 v23, 0xff, v5
	ds_bpermute_b32 v3, v21, v2
	v_lshlrev_b32_e32 v24, 3, v24
	v_cmp_eq_u16_e64 s18, 0, v23
	s_waitcnt lgkmcnt(1)
	v_and_b32_e32 v11, 1, v11
	s_delay_alu instid0(VALU_DEP_3) | instskip(SKIP_1) | instid1(VALU_DEP_3)
	v_add_lshl_u32 v23, v24, v16, 2
	v_add_nc_u32_e32 v24, 8, v16
	v_cndmask_b32_e64 v11, v11, 1, vcc_lo
	v_cmp_gt_u32_e32 vcc_lo, v22, v9
	s_delay_alu instid0(VALU_DEP_2) | instskip(NEXT) | instid1(VALU_DEP_1)
	v_and_b32_e32 v25, 0xffff, v11
	v_dual_cndmask_b32 v5, v11, v5 :: v_dual_cndmask_b32 v10, v25, v10
	s_waitcnt lgkmcnt(0)
	v_cndmask_b32_e64 v3, 0, v3, s18
	s_delay_alu instid0(VALU_DEP_2) | instskip(SKIP_4) | instid1(VALU_DEP_2)
	v_and_b32_e32 v25, 1, v5
	v_and_b32_e32 v26, 0xff, v5
	ds_bpermute_b32 v11, v23, v10
	v_cndmask_b32_e64 v3, v3, 0, vcc_lo
	v_cmp_gt_u32_e32 vcc_lo, 16, v16
	v_add_nc_u32_e32 v2, v3, v2
	v_cndmask_b32_e64 v27, 0, 1, vcc_lo
	v_cmp_eq_u32_e32 vcc_lo, 1, v25
	ds_bpermute_b32 v3, v23, v2
	v_lshlrev_b32_e32 v25, 4, v27
	s_delay_alu instid0(VALU_DEP_1) | instskip(SKIP_2) | instid1(VALU_DEP_1)
	v_add_lshl_u32 v27, v25, v16, 2
	s_waitcnt lgkmcnt(1)
	v_and_b32_e32 v11, 1, v11
	v_cndmask_b32_e64 v11, v11, 1, vcc_lo
	v_cmp_eq_u16_e32 vcc_lo, 0, v26
	s_delay_alu instid0(VALU_DEP_2) | instskip(SKIP_3) | instid1(VALU_DEP_2)
	v_and_b32_e32 v26, 0xffff, v11
	s_waitcnt lgkmcnt(0)
	v_cndmask_b32_e32 v3, 0, v3, vcc_lo
	v_cmp_gt_u32_e32 vcc_lo, v24, v9
	v_cndmask_b32_e64 v3, v3, 0, vcc_lo
	v_dual_cndmask_b32 v10, v26, v10 :: v_dual_cndmask_b32 v5, v11, v5
	s_delay_alu instid0(VALU_DEP_2)
	v_add_nc_u32_e32 v2, v3, v2
	ds_bpermute_b32 v3, v27, v10
	v_and_b32_e32 v11, 0xff, v5
	v_and_b32_e32 v25, 1, v5
	ds_bpermute_b32 v10, v27, v2
	v_cmp_eq_u16_e32 vcc_lo, 0, v11
	s_waitcnt lgkmcnt(0)
	v_dual_cndmask_b32 v10, 0, v10 :: v_dual_and_b32 v3, 1, v3
	v_cmp_eq_u32_e32 vcc_lo, 1, v25
	s_delay_alu instid0(VALU_DEP_2) | instskip(SKIP_2) | instid1(VALU_DEP_3)
	v_cndmask_b32_e64 v3, v3, 1, vcc_lo
	v_cmp_gt_u32_e32 vcc_lo, v28, v9
	v_mov_b32_e32 v9, 0
	v_cndmask_b32_e32 v3, v3, v5, vcc_lo
	v_cndmask_b32_e64 v5, v10, 0, vcc_lo
	s_delay_alu instid0(VALU_DEP_1)
	v_add_nc_u32_e32 v2, v5, v2
	s_branch .LBB32_279
.LBB32_278:                             ;   in Loop: Header=BB32_279 Depth=1
	s_or_b32 exec_lo, exec_lo, s18
	ds_bpermute_b32 v5, v17, v3
	v_and_b32_e32 v10, 0xff, v4
	v_cmp_gt_u64_e64 s18, s[36:37], v[2:3]
	v_subrev_nc_u32_e32 v8, 32, v8
	s_delay_alu instid0(VALU_DEP_3) | instskip(SKIP_2) | instid1(VALU_DEP_2)
	v_cmp_eq_u16_e32 vcc_lo, 2, v10
	v_and_b32_e32 v10, 1, v3
	v_and_or_b32 v11, vcc_lo, v18, 0x80000000
	v_cmp_eq_u32_e32 vcc_lo, 1, v10
	s_delay_alu instid0(VALU_DEP_2) | instskip(SKIP_3) | instid1(VALU_DEP_1)
	v_ctz_i32_b32_e32 v10, v11
	ds_bpermute_b32 v11, v17, v2
	s_waitcnt lgkmcnt(1)
	v_and_b32_e32 v5, 1, v5
	v_cndmask_b32_e64 v5, v5, 1, vcc_lo
	v_cmp_lt_u32_e32 vcc_lo, v16, v10
	s_delay_alu instid0(VALU_DEP_2) | instskip(SKIP_1) | instid1(VALU_DEP_2)
	v_and_b32_e32 v29, 0xffff, v5
	v_cndmask_b32_e32 v5, v3, v5, vcc_lo
	v_cndmask_b32_e32 v29, v3, v29, vcc_lo
	s_and_b32 vcc_lo, vcc_lo, s18
	s_delay_alu instid0(VALU_DEP_2)
	v_and_b32_e32 v31, 0xff, v5
	ds_bpermute_b32 v30, v19, v29
	s_waitcnt lgkmcnt(1)
	v_cndmask_b32_e32 v3, 0, v11, vcc_lo
	v_and_b32_e32 v11, 1, v5
	v_cmp_eq_u16_e64 s18, 0, v31
	s_delay_alu instid0(VALU_DEP_2) | instskip(SKIP_2) | instid1(VALU_DEP_1)
	v_cmp_eq_u32_e32 vcc_lo, 1, v11
	s_waitcnt lgkmcnt(0)
	v_and_b32_e32 v30, 1, v30
	v_cndmask_b32_e64 v11, v30, 1, vcc_lo
	v_cmp_gt_u32_e32 vcc_lo, v20, v10
	s_delay_alu instid0(VALU_DEP_2) | instskip(NEXT) | instid1(VALU_DEP_1)
	v_dual_cndmask_b32 v5, v11, v5 :: v_dual_and_b32 v30, 0xffff, v11
	v_dual_cndmask_b32 v11, v30, v29 :: v_dual_add_nc_u32 v2, v3, v2
	s_delay_alu instid0(VALU_DEP_2)
	v_and_b32_e32 v30, 1, v5
	ds_bpermute_b32 v3, v19, v2
	ds_bpermute_b32 v29, v21, v11
	s_waitcnt lgkmcnt(1)
	v_cndmask_b32_e64 v3, 0, v3, s18
	s_waitcnt lgkmcnt(0)
	v_and_b32_e32 v29, 1, v29
	s_delay_alu instid0(VALU_DEP_2) | instskip(SKIP_2) | instid1(VALU_DEP_4)
	v_cndmask_b32_e64 v3, v3, 0, vcc_lo
	v_cmp_eq_u32_e32 vcc_lo, 1, v30
	v_and_b32_e32 v30, 0xff, v5
	v_cndmask_b32_e64 v29, v29, 1, vcc_lo
	v_cmp_gt_u32_e32 vcc_lo, v22, v10
	v_add_nc_u32_e32 v2, v3, v2
	s_delay_alu instid0(VALU_DEP_4) | instskip(NEXT) | instid1(VALU_DEP_4)
	v_cmp_eq_u16_e64 s18, 0, v30
	v_and_b32_e32 v31, 0xffff, v29
	v_cndmask_b32_e32 v5, v29, v5, vcc_lo
	ds_bpermute_b32 v3, v21, v2
	v_dual_cndmask_b32 v11, v31, v11 :: v_dual_and_b32 v30, 1, v5
	v_and_b32_e32 v31, 0xff, v5
	ds_bpermute_b32 v29, v23, v11
	s_waitcnt lgkmcnt(1)
	v_cndmask_b32_e64 v3, 0, v3, s18
	s_delay_alu instid0(VALU_DEP_1) | instskip(SKIP_3) | instid1(VALU_DEP_1)
	v_cndmask_b32_e64 v3, v3, 0, vcc_lo
	v_cmp_eq_u32_e32 vcc_lo, 1, v30
	s_waitcnt lgkmcnt(0)
	v_and_b32_e32 v29, 1, v29
	v_cndmask_b32_e64 v29, v29, 1, vcc_lo
	v_add_nc_u32_e32 v2, v3, v2
	v_cmp_eq_u16_e32 vcc_lo, 0, v31
	s_delay_alu instid0(VALU_DEP_3)
	v_and_b32_e32 v30, 0xffff, v29
	ds_bpermute_b32 v3, v23, v2
	s_waitcnt lgkmcnt(0)
	v_cndmask_b32_e32 v3, 0, v3, vcc_lo
	v_cmp_gt_u32_e32 vcc_lo, v24, v10
	v_cndmask_b32_e32 v5, v29, v5, vcc_lo
	s_delay_alu instid0(VALU_DEP_3) | instskip(SKIP_1) | instid1(VALU_DEP_3)
	v_cndmask_b32_e64 v3, v3, 0, vcc_lo
	v_cndmask_b32_e32 v11, v30, v11, vcc_lo
	v_and_b32_e32 v29, 1, v5
	s_delay_alu instid0(VALU_DEP_3)
	v_add_nc_u32_e32 v2, v3, v2
	ds_bpermute_b32 v3, v27, v11
	v_and_b32_e32 v30, 0xff, v5
	v_cmp_eq_u32_e32 vcc_lo, 1, v29
	ds_bpermute_b32 v11, v27, v2
	s_waitcnt lgkmcnt(1)
	v_cndmask_b32_e64 v3, v3, 1, vcc_lo
	v_cmp_eq_u16_e32 vcc_lo, 0, v30
	s_waitcnt lgkmcnt(0)
	v_cndmask_b32_e32 v11, 0, v11, vcc_lo
	v_cmp_gt_u32_e32 vcc_lo, v28, v10
	v_and_b32_e32 v10, 0xff, v25
	v_cndmask_b32_e32 v3, v3, v5, vcc_lo
	s_delay_alu instid0(VALU_DEP_4) | instskip(NEXT) | instid1(VALU_DEP_3)
	v_cndmask_b32_e64 v5, v11, 0, vcc_lo
	v_cmp_eq_u16_e32 vcc_lo, 0, v10
	s_delay_alu instid0(VALU_DEP_2) | instskip(SKIP_1) | instid1(VALU_DEP_2)
	v_add_nc_u32_e32 v2, v5, v2
	v_and_b32_e32 v5, 1, v25
	v_dual_cndmask_b32 v2, 0, v2 :: v_dual_and_b32 v3, 1, v3
	s_delay_alu instid0(VALU_DEP_2) | instskip(NEXT) | instid1(VALU_DEP_2)
	v_cmp_eq_u32_e32 vcc_lo, 1, v5
	v_add_nc_u32_e32 v2, v2, v26
	s_delay_alu instid0(VALU_DEP_3)
	v_cndmask_b32_e64 v3, v3, 1, vcc_lo
.LBB32_279:                             ; =>This Loop Header: Depth=1
                                        ;     Child Loop BB32_282 Depth 2
                                        ;       Child Loop BB32_283 Depth 3
	s_delay_alu instid0(VALU_DEP_1) | instskip(NEXT) | instid1(VALU_DEP_2)
	v_dual_mov_b32 v25, v3 :: v_dual_and_b32 v4, 0xff, v4
	v_mov_b32_e32 v26, v2
	s_delay_alu instid0(VALU_DEP_2) | instskip(SKIP_2) | instid1(VALU_DEP_1)
	v_cmp_ne_u16_e32 vcc_lo, 2, v4
	v_cndmask_b32_e64 v4, 0, 1, vcc_lo
	;;#ASMSTART
	;;#ASMEND
	v_cmp_ne_u32_e32 vcc_lo, 0, v4
	s_cmp_lg_u32 vcc_lo, exec_lo
	s_cbranch_scc1 .LBB32_286
; %bb.280:                              ;   in Loop: Header=BB32_279 Depth=1
	v_lshlrev_b64 v[2:3], 4, v[8:9]
	s_mov_b32 s18, exec_lo
	s_delay_alu instid0(VALU_DEP_1) | instskip(NEXT) | instid1(VALU_DEP_2)
	v_add_co_u32 v10, vcc_lo, s28, v2
	v_add_co_ci_u32_e32 v11, vcc_lo, s29, v3, vcc_lo
	;;#ASMSTART
	global_load_dwordx4 v[2:5], v[10:11] off glc	
s_waitcnt vmcnt(0)
	;;#ASMEND
	v_and_b32_e32 v5, 0xffff, v2
	v_and_b32_e32 v29, 0xff0000, v2
	;; [unrolled: 1-line block ×4, first 2 shown]
	s_delay_alu instid0(VALU_DEP_3) | instskip(SKIP_1) | instid1(VALU_DEP_3)
	v_or_b32_e32 v5, v5, v29
	v_and_b32_e32 v29, 0xff, v4
	v_or3_b32 v3, 0, 0, v3
	s_delay_alu instid0(VALU_DEP_3) | instskip(NEXT) | instid1(VALU_DEP_3)
	v_or3_b32 v2, v5, v2, 0
	v_cmpx_eq_u16_e32 0, v29
	s_cbranch_execz .LBB32_278
; %bb.281:                              ;   in Loop: Header=BB32_279 Depth=1
	s_mov_b32 s38, 1
	s_mov_b32 s19, 0
	.p2align	6
.LBB32_282:                             ;   Parent Loop BB32_279 Depth=1
                                        ; =>  This Loop Header: Depth=2
                                        ;       Child Loop BB32_283 Depth 3
	s_max_u32 s39, s38, 1
.LBB32_283:                             ;   Parent Loop BB32_279 Depth=1
                                        ;     Parent Loop BB32_282 Depth=2
                                        ; =>    This Inner Loop Header: Depth=3
	s_delay_alu instid0(SALU_CYCLE_1)
	s_add_i32 s39, s39, -1
	s_sleep 1
	s_cmp_eq_u32 s39, 0
	s_cbranch_scc0 .LBB32_283
; %bb.284:                              ;   in Loop: Header=BB32_282 Depth=2
	;;#ASMSTART
	global_load_dwordx4 v[2:5], v[10:11] off glc	
s_waitcnt vmcnt(0)
	;;#ASMEND
	v_and_b32_e32 v5, 0xff, v4
	s_cmp_lt_u32 s38, 32
	s_cselect_b32 s39, -1, 0
	s_delay_alu instid0(SALU_CYCLE_1) | instskip(NEXT) | instid1(VALU_DEP_1)
	s_cmp_lg_u32 s39, 0
	v_cmp_ne_u16_e32 vcc_lo, 0, v5
	s_addc_u32 s38, s38, 0
	s_or_b32 s19, vcc_lo, s19
	s_delay_alu instid0(SALU_CYCLE_1)
	s_and_not1_b32 exec_lo, exec_lo, s19
	s_cbranch_execnz .LBB32_282
; %bb.285:                              ;   in Loop: Header=BB32_279 Depth=1
	s_or_b32 exec_lo, exec_lo, s19
	v_and_b32_e32 v3, 0xff, v3
	s_branch .LBB32_278
.LBB32_286:                             ;   in Loop: Header=BB32_279 Depth=1
                                        ; implicit-def: $vgpr3
                                        ; implicit-def: $vgpr2
                                        ; implicit-def: $vgpr4
	s_cbranch_execz .LBB32_279
; %bb.287:
	s_and_saveexec_b32 s18, s17
	s_cbranch_execz .LBB32_289
; %bb.288:
	s_and_b32 s17, s33, 0xff
	s_mov_b32 s37, 0
	s_cmp_eq_u32 s17, 0
	v_and_b32_e32 v3, 1, v25
	s_cselect_b32 vcc_lo, -1, 0
	s_bitcmp1_b32 s33, 0
	v_cndmask_b32_e32 v2, 0, v26, vcc_lo
	s_cselect_b32 s17, -1, 0
	s_add_i32 s36, s15, 32
	v_mov_b32_e32 v4, 0
	s_lshl_b64 s[36:37], s[36:37], 4
	v_add_nc_u32_e32 v1, v2, v1
	s_add_u32 s36, s28, s36
	s_addc_u32 s37, s29, s37
	v_cndmask_b32_e64 v2, v3, 1, s17
	v_dual_mov_b32 v3, 2 :: v_dual_mov_b32 v8, s36
	v_mov_b32_e32 v9, s37
	;;#ASMSTART
	global_store_dwordx4 v[8:9], v[1:4] off	
s_waitcnt vmcnt(0)
	;;#ASMEND
.LBB32_289:
	s_or_b32 exec_lo, exec_lo, s18
	s_delay_alu instid0(SALU_CYCLE_1)
	s_and_b32 exec_lo, exec_lo, s16
	s_cbranch_execz .LBB32_291
; %bb.290:
	v_mov_b32_e32 v1, 0
	ds_store_b32 v1, v26
	ds_store_b8 v1, v25 offset:4
.LBB32_291:
	s_or_b32 exec_lo, exec_lo, s31
	v_dual_mov_b32 v1, 0 :: v_dual_and_b32 v2, 1, v36
	s_waitcnt lgkmcnt(0)
	v_and_b32_e32 v3, 1, v15
	s_barrier
	buffer_gl0_inv
	v_cmp_eq_u32_e32 vcc_lo, 1, v2
	ds_load_b32 v1, v1
	s_mov_b32 s19, 1
	s_mov_b32 s18, 0
	v_cndmask_b32_e64 v2, v3, 1, vcc_lo
	v_cmp_gt_u64_e32 vcc_lo, s[18:19], v[35:36]
	s_delay_alu instid0(VALU_DEP_2) | instskip(SKIP_1) | instid1(VALU_DEP_2)
	v_cndmask_b32_e64 v2, v2, v36, s16
	v_cndmask_b32_e32 v3, 0, v14, vcc_lo
	v_and_b32_e32 v2, 0xff, v2
	s_delay_alu instid0(VALU_DEP_2) | instskip(NEXT) | instid1(VALU_DEP_2)
	v_cndmask_b32_e64 v3, v3, 0, s16
	v_cmp_eq_u16_e32 vcc_lo, 0, v2
	s_waitcnt lgkmcnt(0)
	v_cndmask_b32_e32 v1, 0, v1, vcc_lo
	s_delay_alu instid0(VALU_DEP_1) | instskip(NEXT) | instid1(VALU_DEP_1)
	v_add3_u32 v23, v3, v35, v1
	v_cndmask_b32_e64 v1, 0, v23, s0
	s_delay_alu instid0(VALU_DEP_1) | instskip(NEXT) | instid1(VALU_DEP_1)
	v_add_nc_u32_e32 v4, v1, v37
	v_cndmask_b32_e64 v1, 0, v4, s1
	s_delay_alu instid0(VALU_DEP_1) | instskip(NEXT) | instid1(VALU_DEP_1)
	v_add_nc_u32_e32 v5, v1, v39
	;; [unrolled: 3-line block ×14, first 2 shown]
	v_cndmask_b32_e64 v1, 0, v21, s14
	s_delay_alu instid0(VALU_DEP_1)
	v_add_nc_u32_e32 v22, v1, v6
	s_branch .LBB32_310
.LBB32_292:
                                        ; implicit-def: $vgpr23
                                        ; implicit-def: $vgpr4
                                        ; implicit-def: $vgpr5
                                        ; implicit-def: $vgpr8
                                        ; implicit-def: $vgpr9
                                        ; implicit-def: $vgpr10
                                        ; implicit-def: $vgpr11
                                        ; implicit-def: $vgpr14
                                        ; implicit-def: $vgpr15
                                        ; implicit-def: $vgpr16
                                        ; implicit-def: $vgpr17
                                        ; implicit-def: $vgpr18
                                        ; implicit-def: $vgpr19
                                        ; implicit-def: $vgpr20
                                        ; implicit-def: $vgpr21
                                        ; implicit-def: $vgpr22
	s_cbranch_execz .LBB32_310
; %bb.293:
	s_cmp_lg_u64 s[44:45], 0
	v_cmp_eq_u32_e32 vcc_lo, 0, v0
	s_cselect_b32 s3, s23, 0
	s_cselect_b32 s2, s22, 0
	v_cmp_ne_u32_e64 s0, 0, v0
	s_cmp_lg_u64 s[2:3], 0
	s_mov_b32 s16, 0
	s_cselect_b32 s1, -1, 0
	s_delay_alu instid0(SALU_CYCLE_1) | instskip(NEXT) | instid1(SALU_CYCLE_1)
	s_and_b32 s1, vcc_lo, s1
	s_and_saveexec_b32 s4, s1
	s_cbranch_execz .LBB32_295
; %bb.294:
	v_mov_b32_e32 v1, 0
	s_mov_b32 s17, 1
	s_clause 0x1
	global_load_b32 v2, v1, s[2:3]
	global_load_u8 v3, v1, s[2:3] offset:4
	v_cmp_gt_u64_e64 s1, s[16:17], v[35:36]
	s_waitcnt vmcnt(1)
	s_delay_alu instid0(VALU_DEP_1) | instskip(SKIP_3) | instid1(VALU_DEP_3)
	v_cndmask_b32_e64 v4, 0, v2, s1
	v_and_b32_e32 v2, 1, v36
	s_waitcnt vmcnt(0)
	v_and_b32_e32 v3, 1, v3
	v_add_nc_u32_e32 v35, v4, v35
	s_delay_alu instid0(VALU_DEP_3) | instskip(NEXT) | instid1(VALU_DEP_1)
	v_cmp_eq_u64_e64 s1, 0, v[1:2]
	v_cndmask_b32_e64 v36, 1, v3, s1
.LBB32_295:
	s_or_b32 exec_lo, exec_lo, s4
	s_mov_b32 s17, 1
	v_or3_b32 v2, v13, v60, v58
	v_cmp_gt_u64_e64 s1, s[16:17], v[37:38]
	v_cmp_gt_u64_e64 s2, s[16:17], v[39:40]
	;; [unrolled: 1-line block ×6, first 2 shown]
	v_cndmask_b32_e64 v1, 0, v35, s1
	v_cmp_gt_u64_e64 s7, s[16:17], v[49:50]
	v_cmp_gt_u64_e64 s8, s[16:17], v[51:52]
	;; [unrolled: 1-line block ×4, first 2 shown]
	v_add_nc_u32_e32 v4, v1, v37
	v_cmp_gt_u64_e64 s11, s[16:17], v[57:58]
	v_cmp_gt_u64_e64 s12, s[16:17], v[59:60]
	;; [unrolled: 1-line block ×4, first 2 shown]
	v_cndmask_b32_e64 v1, 0, v4, s2
	v_cmp_gt_u64_e64 s15, s[16:17], v[6:7]
	v_add_lshl_u32 v3, v12, v0, 3
	s_mov_b32 s17, exec_lo
	s_delay_alu instid0(VALU_DEP_3) | instskip(NEXT) | instid1(VALU_DEP_1)
	v_add_nc_u32_e32 v5, v1, v39
	v_cndmask_b32_e64 v1, 0, v5, s3
	s_delay_alu instid0(VALU_DEP_1) | instskip(NEXT) | instid1(VALU_DEP_1)
	v_add_nc_u32_e32 v8, v1, v41
	v_cndmask_b32_e64 v1, 0, v8, s4
	s_delay_alu instid0(VALU_DEP_1) | instskip(NEXT) | instid1(VALU_DEP_1)
	;; [unrolled: 3-line block ×9, first 2 shown]
	v_add_nc_u32_e32 v18, v1, v57
	v_cndmask_b32_e64 v1, 0, v18, s12
	s_delay_alu instid0(VALU_DEP_1) | instskip(SKIP_1) | instid1(VALU_DEP_2)
	v_add_nc_u32_e32 v19, v1, v59
	v_or3_b32 v1, v2, v56, v54
	v_cndmask_b32_e64 v2, 0, v19, s13
	s_delay_alu instid0(VALU_DEP_2) | instskip(NEXT) | instid1(VALU_DEP_2)
	v_or3_b32 v1, v1, v52, v50
	v_add_nc_u32_e32 v20, v2, v61
	s_delay_alu instid0(VALU_DEP_2) | instskip(NEXT) | instid1(VALU_DEP_2)
	v_or3_b32 v1, v1, v48, v46
	v_cndmask_b32_e64 v2, 0, v20, s14
	s_delay_alu instid0(VALU_DEP_2) | instskip(NEXT) | instid1(VALU_DEP_2)
	v_or3_b32 v1, v1, v44, v42
	v_add_nc_u32_e32 v21, v2, v63
	s_delay_alu instid0(VALU_DEP_2) | instskip(NEXT) | instid1(VALU_DEP_2)
	v_or3_b32 v1, v1, v40, v38
	v_cndmask_b32_e64 v2, 0, v21, s15
	s_delay_alu instid0(VALU_DEP_2) | instskip(NEXT) | instid1(VALU_DEP_2)
	v_and_b32_e32 v1, 1, v1
	v_add_nc_u32_e32 v22, v2, v6
	s_delay_alu instid0(VALU_DEP_2) | instskip(NEXT) | instid1(VALU_DEP_1)
	v_cmp_eq_u32_e64 s16, 1, v1
	v_cndmask_b32_e64 v7, v36, 1, s16
	ds_store_b32 v3, v22
	ds_store_b8 v3, v7 offset:4
	s_waitcnt lgkmcnt(0)
	s_barrier
	buffer_gl0_inv
	v_cmpx_gt_u32_e32 32, v0
	s_cbranch_execz .LBB32_305
; %bb.296:
	v_lshlrev_b32_e32 v1, 1, v0
	s_mov_b32 s18, exec_lo
	s_delay_alu instid0(VALU_DEP_1) | instskip(NEXT) | instid1(VALU_DEP_1)
	v_and_b32_e32 v1, 0x1f8, v1
	v_lshl_or_b32 v3, v0, 6, v1
	ds_load_u8 v13, v3 offset:12
	ds_load_b64 v[1:2], v3
	ds_load_u8 v27, v3 offset:20
	ds_load_2addr_b32 v[23:24], v3 offset0:2 offset1:4
	ds_load_u8 v28, v3 offset:28
	ds_load_u8 v29, v3 offset:36
	ds_load_u8 v30, v3 offset:44
	ds_load_u8 v31, v3 offset:52
	ds_load_b32 v32, v3 offset:56
	ds_load_u8 v33, v3 offset:60
	s_waitcnt lgkmcnt(9)
	v_and_b32_e32 v25, 0xff, v13
	s_waitcnt lgkmcnt(7)
	v_and_b32_e32 v38, 0xff, v27
	s_delay_alu instid0(VALU_DEP_2)
	v_cmp_eq_u16_e64 s16, 0, v25
	ds_load_2addr_b32 v[25:26], v3 offset0:6 offset1:8
	s_waitcnt lgkmcnt(5)
	v_and_b32_e32 v40, 0xff, v29
	v_cndmask_b32_e64 v34, 0, v1, s16
	v_cmp_eq_u16_e64 s16, 0, v38
	s_delay_alu instid0(VALU_DEP_2) | instskip(SKIP_1) | instid1(VALU_DEP_2)
	v_add_nc_u32_e32 v23, v34, v23
	v_and_b32_e32 v34, 0xff, v28
	v_cndmask_b32_e64 v23, 0, v23, s16
	s_delay_alu instid0(VALU_DEP_2) | instskip(NEXT) | instid1(VALU_DEP_2)
	v_cmp_eq_u16_e64 s16, 0, v34
	v_add_nc_u32_e32 v23, v23, v24
	s_waitcnt lgkmcnt(1)
	v_or_b32_e32 v24, v33, v31
	s_delay_alu instid0(VALU_DEP_2) | instskip(NEXT) | instid1(VALU_DEP_2)
	v_cndmask_b32_e64 v34, 0, v23, s16
	v_or_b32_e32 v38, v24, v30
	ds_load_2addr_b32 v[23:24], v3 offset0:10 offset1:12
	v_cmp_eq_u16_e64 s16, 0, v40
	s_waitcnt lgkmcnt(1)
	v_add_nc_u32_e32 v25, v34, v25
	v_or_b32_e32 v29, v38, v29
	s_delay_alu instid0(VALU_DEP_2) | instskip(NEXT) | instid1(VALU_DEP_2)
	v_cndmask_b32_e64 v25, 0, v25, s16
	v_or_b32_e32 v28, v29, v28
	v_and_b32_e32 v29, 0xff, v30
	s_delay_alu instid0(VALU_DEP_3) | instskip(NEXT) | instid1(VALU_DEP_3)
	v_add_nc_u32_e32 v25, v25, v26
	v_or_b32_e32 v26, v28, v27
	s_delay_alu instid0(VALU_DEP_3) | instskip(NEXT) | instid1(VALU_DEP_2)
	v_cmp_eq_u16_e64 s16, 0, v29
	v_or_b32_e32 v13, v26, v13
	s_delay_alu instid0(VALU_DEP_2) | instskip(SKIP_2) | instid1(VALU_DEP_2)
	v_cndmask_b32_e64 v25, 0, v25, s16
	v_and_b32_e32 v26, 0xff, v31
	s_waitcnt lgkmcnt(0)
	v_add_nc_u32_e32 v23, v25, v23
	v_and_b32_e32 v25, 1, v13
	s_delay_alu instid0(VALU_DEP_3) | instskip(SKIP_1) | instid1(VALU_DEP_2)
	v_cmp_eq_u16_e64 s16, 0, v26
	v_and_b32_e32 v13, 1, v2
	v_cndmask_b32_e64 v23, 0, v23, s16
	s_delay_alu instid0(VALU_DEP_4) | instskip(SKIP_1) | instid1(VALU_DEP_3)
	v_cmp_eq_u32_e64 s16, 1, v25
	v_mbcnt_lo_u32_b32 v25, -1, 0
	v_add_nc_u32_e32 v24, v23, v24
	s_delay_alu instid0(VALU_DEP_3) | instskip(SKIP_2) | instid1(VALU_DEP_3)
	v_cndmask_b32_e64 v26, v13, 1, s16
	v_cmp_eq_u16_e64 s16, 0, v33
	v_and_b32_e32 v23, 0xffffff00, v2
	v_and_b32_e32 v27, 0xffff, v26
	s_delay_alu instid0(VALU_DEP_3) | instskip(NEXT) | instid1(VALU_DEP_2)
	v_cndmask_b32_e64 v24, 0, v24, s16
	v_or_b32_e32 v28, v23, v27
	s_delay_alu instid0(VALU_DEP_2) | instskip(SKIP_1) | instid1(VALU_DEP_3)
	v_add_nc_u32_e32 v24, v24, v32
	v_and_b32_e32 v27, 15, v25
	v_mov_b32_dpp v30, v28 row_shr:1 row_mask:0xf bank_mask:0xf
	s_delay_alu instid0(VALU_DEP_3) | instskip(NEXT) | instid1(VALU_DEP_3)
	v_mov_b32_dpp v29, v24 row_shr:1 row_mask:0xf bank_mask:0xf
	v_cmpx_ne_u32_e32 0, v27
; %bb.297:
	v_and_b32_e32 v28, 1, v26
	s_delay_alu instid0(VALU_DEP_4) | instskip(NEXT) | instid1(VALU_DEP_2)
	v_and_b32_e32 v30, 1, v30
	v_cmp_eq_u32_e64 s16, 1, v28
	s_delay_alu instid0(VALU_DEP_1) | instskip(SKIP_1) | instid1(VALU_DEP_2)
	v_cndmask_b32_e64 v30, v30, 1, s16
	v_cmp_eq_u16_e64 s16, 0, v26
	v_and_b32_e32 v28, 0xffff, v30
	s_delay_alu instid0(VALU_DEP_2) | instskip(NEXT) | instid1(VALU_DEP_2)
	v_cndmask_b32_e64 v26, 0, v29, s16
	v_or_b32_e32 v28, v23, v28
	s_delay_alu instid0(VALU_DEP_2)
	v_add_nc_u32_e32 v24, v26, v24
	v_mov_b32_e32 v26, v30
; %bb.298:
	s_or_b32 exec_lo, exec_lo, s18
	s_delay_alu instid0(VALU_DEP_2)
	v_mov_b32_dpp v29, v24 row_shr:2 row_mask:0xf bank_mask:0xf
	v_mov_b32_dpp v30, v28 row_shr:2 row_mask:0xf bank_mask:0xf
	s_mov_b32 s18, exec_lo
	v_cmpx_lt_u32_e32 1, v27
; %bb.299:
	v_and_b32_e32 v28, 1, v26
	s_delay_alu instid0(VALU_DEP_3) | instskip(NEXT) | instid1(VALU_DEP_2)
	v_and_b32_e32 v30, 1, v30
	v_cmp_eq_u32_e64 s16, 1, v28
	s_delay_alu instid0(VALU_DEP_1) | instskip(SKIP_1) | instid1(VALU_DEP_2)
	v_cndmask_b32_e64 v30, v30, 1, s16
	v_cmp_eq_u16_e64 s16, 0, v26
	v_and_b32_e32 v28, 0xffff, v30
	s_delay_alu instid0(VALU_DEP_2) | instskip(NEXT) | instid1(VALU_DEP_2)
	v_cndmask_b32_e64 v26, 0, v29, s16
	v_or_b32_e32 v28, v23, v28
	s_delay_alu instid0(VALU_DEP_2)
	v_add_nc_u32_e32 v24, v26, v24
	v_mov_b32_e32 v26, v30
; %bb.300:
	s_or_b32 exec_lo, exec_lo, s18
	s_delay_alu instid0(VALU_DEP_2)
	v_mov_b32_dpp v29, v24 row_shr:4 row_mask:0xf bank_mask:0xf
	v_mov_b32_dpp v30, v28 row_shr:4 row_mask:0xf bank_mask:0xf
	s_mov_b32 s18, exec_lo
	v_cmpx_lt_u32_e32 3, v27
; %bb.301:
	v_and_b32_e32 v28, 1, v26
	s_delay_alu instid0(VALU_DEP_3) | instskip(NEXT) | instid1(VALU_DEP_2)
	;; [unrolled: 22-line block ×3, first 2 shown]
	v_and_b32_e32 v28, 1, v30
	v_cmp_eq_u32_e64 s16, 1, v27
	s_delay_alu instid0(VALU_DEP_1) | instskip(SKIP_1) | instid1(VALU_DEP_2)
	v_cndmask_b32_e64 v27, v28, 1, s16
	v_cmp_eq_u16_e64 s16, 0, v26
	v_and_b32_e32 v28, 0xffff, v27
	s_delay_alu instid0(VALU_DEP_2) | instskip(NEXT) | instid1(VALU_DEP_2)
	v_cndmask_b32_e64 v26, 0, v29, s16
	v_or_b32_e32 v28, v23, v28
	s_delay_alu instid0(VALU_DEP_2)
	v_add_nc_u32_e32 v24, v26, v24
	v_mov_b32_e32 v26, v27
; %bb.304:
	s_or_b32 exec_lo, exec_lo, s18
	ds_swizzle_b32 v27, v28 offset:swizzle(BROADCAST,32,15)
	ds_swizzle_b32 v28, v24 offset:swizzle(BROADCAST,32,15)
	v_and_b32_e32 v29, 1, v26
	v_and_b32_e32 v30, 16, v25
	v_bfe_i32 v31, v25, 4, 1
	v_and_b32_e32 v2, 0xff, v2
	s_delay_alu instid0(VALU_DEP_4) | instskip(SKIP_3) | instid1(VALU_DEP_1)
	v_cmp_eq_u32_e64 s16, 1, v29
	v_add_nc_u32_e32 v29, -1, v25
	; wave barrier
	s_waitcnt lgkmcnt(1)
	v_and_b32_e32 v27, 1, v27
	v_cndmask_b32_e64 v27, v27, 1, s16
	v_cmp_eq_u16_e64 s16, 0, v26
	s_waitcnt lgkmcnt(0)
	s_delay_alu instid0(VALU_DEP_1) | instskip(SKIP_1) | instid1(VALU_DEP_1)
	v_cndmask_b32_e64 v28, 0, v28, s16
	v_cmp_eq_u32_e64 s16, 0, v30
	v_cndmask_b32_e64 v26, v27, v26, s16
	v_cmp_gt_i32_e64 s16, 0, v29
	s_delay_alu instid0(VALU_DEP_4) | instskip(NEXT) | instid1(VALU_DEP_3)
	v_and_b32_e32 v27, v31, v28
	v_and_b32_e32 v26, 0xffff, v26
	s_delay_alu instid0(VALU_DEP_3) | instskip(NEXT) | instid1(VALU_DEP_3)
	v_cndmask_b32_e64 v25, v29, v25, s16
	v_add_nc_u32_e32 v24, v27, v24
	v_cmp_eq_u16_e64 s16, 0, v2
	s_delay_alu instid0(VALU_DEP_4) | instskip(NEXT) | instid1(VALU_DEP_4)
	v_or_b32_e32 v23, v23, v26
	v_lshlrev_b32_e32 v25, 2, v25
	ds_bpermute_b32 v24, v25, v24
	ds_bpermute_b32 v23, v25, v23
	s_waitcnt lgkmcnt(1)
	v_cndmask_b32_e64 v2, 0, v24, s16
	s_waitcnt lgkmcnt(0)
	v_and_b32_e32 v23, 1, v23
	v_cmp_eq_u32_e64 s16, 1, v13
	s_delay_alu instid0(VALU_DEP_3) | instskip(NEXT) | instid1(VALU_DEP_2)
	v_add_nc_u32_e32 v1, v2, v1
	v_cndmask_b32_e64 v2, v23, 1, s16
	s_delay_alu instid0(VALU_DEP_2) | instskip(NEXT) | instid1(VALU_DEP_2)
	v_cndmask_b32_e32 v13, v1, v22, vcc_lo
	v_cndmask_b32_e32 v7, v2, v7, vcc_lo
	ds_store_b32 v3, v13
	ds_store_b8 v3, v7 offset:4
	; wave barrier
	ds_load_u8 v25, v3 offset:12
	ds_load_2addr_b32 v[1:2], v3 offset0:2 offset1:4
	ds_load_u8 v26, v3 offset:20
	ds_load_u8 v27, v3 offset:28
	;; [unrolled: 1-line block ×5, first 2 shown]
	ds_load_b32 v31, v3 offset:56
	ds_load_u8 v32, v3 offset:60
	ds_load_2addr_b32 v[23:24], v3 offset0:6 offset1:8
	s_waitcnt lgkmcnt(9)
	v_cmp_eq_u16_e64 s16, 0, v25
	v_and_b32_e32 v25, 1, v25
	s_delay_alu instid0(VALU_DEP_2) | instskip(SKIP_3) | instid1(VALU_DEP_3)
	v_cndmask_b32_e64 v13, 0, v13, s16
	s_waitcnt lgkmcnt(7)
	v_cmp_eq_u16_e64 s16, 0, v26
	v_and_b32_e32 v26, 1, v26
	v_add_nc_u32_e32 v13, v13, v1
	s_delay_alu instid0(VALU_DEP_1) | instskip(SKIP_2) | instid1(VALU_DEP_2)
	v_cndmask_b32_e64 v1, 0, v13, s16
	s_waitcnt lgkmcnt(6)
	v_cmp_eq_u16_e64 s16, 0, v27
	v_add_nc_u32_e32 v33, v1, v2
	ds_load_2addr_b32 v[1:2], v3 offset0:10 offset1:12
	v_cndmask_b32_e64 v34, 0, v33, s16
	s_waitcnt lgkmcnt(6)
	v_cmp_eq_u16_e64 s16, 0, v28
	ds_store_2addr_b32 v3, v13, v33 offset0:2 offset1:4
	s_waitcnt lgkmcnt(2)
	v_add_nc_u32_e32 v23, v34, v23
	s_delay_alu instid0(VALU_DEP_1) | instskip(SKIP_3) | instid1(VALU_DEP_4)
	v_cndmask_b32_e64 v34, 0, v23, s16
	v_cmp_eq_u32_e64 s16, 1, v25
	v_and_b32_e32 v25, 1, v27
	v_and_b32_e32 v27, 1, v28
	v_add_nc_u32_e32 v24, v34, v24
	s_delay_alu instid0(VALU_DEP_4) | instskip(SKIP_2) | instid1(VALU_DEP_2)
	v_cndmask_b32_e64 v7, v7, 1, s16
	v_cmp_eq_u32_e64 s16, 1, v26
	v_and_b32_e32 v34, 1, v32
	v_cndmask_b32_e64 v26, v7, 1, s16
	v_cmp_eq_u16_e64 s16, 0, v29
	v_and_b32_e32 v29, 1, v29
	s_delay_alu instid0(VALU_DEP_2) | instskip(SKIP_2) | instid1(VALU_DEP_2)
	v_cndmask_b32_e64 v28, 0, v24, s16
	v_cmp_eq_u32_e64 s16, 1, v25
	s_waitcnt lgkmcnt(1)
	v_add_nc_u32_e32 v1, v28, v1
	s_delay_alu instid0(VALU_DEP_2) | instskip(SKIP_2) | instid1(VALU_DEP_2)
	v_cndmask_b32_e64 v25, v26, 1, s16
	v_cmp_eq_u32_e64 s16, 1, v27
	v_and_b32_e32 v28, 1, v30
	v_cndmask_b32_e64 v27, v25, 1, s16
	v_cmp_eq_u16_e64 s16, 0, v30
	s_delay_alu instid0(VALU_DEP_1) | instskip(SKIP_1) | instid1(VALU_DEP_2)
	v_cndmask_b32_e64 v30, 0, v1, s16
	v_cmp_eq_u32_e64 s16, 1, v29
	v_add_nc_u32_e32 v2, v30, v2
	s_delay_alu instid0(VALU_DEP_2)
	v_cndmask_b32_e64 v29, v27, 1, s16
	v_cmp_eq_u32_e64 s16, 1, v28
	ds_store_2addr_b32 v3, v23, v24 offset0:6 offset1:8
	ds_store_2addr_b32 v3, v1, v2 offset0:10 offset1:12
	v_cndmask_b32_e64 v28, v29, 1, s16
	v_cmp_eq_u16_e64 s16, 0, v32
	s_delay_alu instid0(VALU_DEP_1) | instskip(SKIP_1) | instid1(VALU_DEP_2)
	v_cndmask_b32_e64 v13, 0, v2, s16
	v_cmp_eq_u32_e64 s16, 1, v34
	v_add_nc_u32_e32 v1, v13, v31
	s_delay_alu instid0(VALU_DEP_2)
	v_cndmask_b32_e64 v30, v28, 1, s16
	ds_store_b8 v3, v7 offset:12
	ds_store_b8 v3, v26 offset:20
	;; [unrolled: 1-line block ×6, first 2 shown]
	ds_store_b32 v3, v1 offset:56
	ds_store_b8 v3, v30 offset:60
.LBB32_305:
	s_or_b32 exec_lo, exec_lo, s17
	v_mov_b32_e32 v1, v22
	s_waitcnt lgkmcnt(0)
	s_barrier
	buffer_gl0_inv
	s_and_saveexec_b32 s16, s0
	s_cbranch_execnz .LBB32_333
; %bb.306:
	s_or_b32 exec_lo, exec_lo, s16
	s_and_saveexec_b32 s16, s0
	s_cbranch_execnz .LBB32_334
.LBB32_307:
	s_or_b32 exec_lo, exec_lo, s16
	s_and_saveexec_b32 s0, vcc_lo
	s_cbranch_execz .LBB32_309
.LBB32_308:
	v_dual_mov_b32 v26, 0 :: v_dual_mov_b32 v25, 2
	s_add_u32 s2, s28, 0x200
	s_addc_u32 s3, s29, 0
	s_waitcnt lgkmcnt(0)
	v_dual_mov_b32 v1, s2 :: v_dual_mov_b32 v2, s3
	ds_load_b32 v23, v26 offset:2096
	ds_load_u8 v24, v26 offset:2100
	s_waitcnt lgkmcnt(0)
	;;#ASMSTART
	global_store_dwordx4 v[1:2], v[23:26] off	
s_waitcnt vmcnt(0)
	;;#ASMEND
.LBB32_309:
	s_or_b32 exec_lo, exec_lo, s0
	v_mov_b32_e32 v23, v35
.LBB32_310:
	s_add_u32 s0, s26, s34
	v_lshlrev_b32_e32 v37, 1, v0
	v_or_b32_e32 v36, 0x100, v0
	v_or_b32_e32 v35, 0x200, v0
	;; [unrolled: 1-line block ×15, first 2 shown]
	v_lshlrev_b32_e32 v6, 2, v0
	s_addc_u32 s1, s27, s35
	s_add_u32 s0, s0, s24
	s_addc_u32 s1, s1, s25
	s_and_b32 vcc_lo, exec_lo, s21
	s_cbranch_vccz .LBB32_328
; %bb.311:
	s_waitcnt lgkmcnt(0)
	v_and_b32_e32 v1, 0x1fc, v37
	s_barrier
	buffer_gl0_inv
	v_lshrrev_b32_e32 v2, 5, v35
	v_lshl_add_u32 v1, v0, 6, v1
	v_lshrrev_b32_e32 v3, 5, v34
	v_lshrrev_b32_e32 v38, 5, v33
	;; [unrolled: 1-line block ×4, first 2 shown]
	ds_store_2addr_b32 v1, v23, v4 offset1:1
	ds_store_2addr_b32 v1, v5, v8 offset0:2 offset1:3
	ds_store_2addr_b32 v1, v9, v10 offset0:4 offset1:5
	ds_store_2addr_b32 v1, v11, v14 offset0:6 offset1:7
	ds_store_2addr_b32 v1, v15, v16 offset0:8 offset1:9
	ds_store_2addr_b32 v1, v17, v18 offset0:10 offset1:11
	ds_store_2addr_b32 v1, v19, v20 offset0:12 offset1:13
	ds_store_2addr_b32 v1, v21, v22 offset0:14 offset1:15
	v_lshrrev_b32_e32 v1, 5, v36
	v_lshrrev_b32_e32 v41, 5, v30
	;; [unrolled: 1-line block ×3, first 2 shown]
	v_add_lshl_u32 v2, v2, v0, 2
	v_add_lshl_u32 v3, v3, v0, 2
	;; [unrolled: 1-line block ×4, first 2 shown]
	v_lshrrev_b32_e32 v43, 5, v28
	v_add_lshl_u32 v39, v39, v0, 2
	v_lshrrev_b32_e32 v45, 5, v27
	s_waitcnt lgkmcnt(0)
	s_barrier
	buffer_gl0_inv
	v_add_lshl_u32 v40, v40, v0, 2
	v_add_lshl_u32 v41, v41, v0, 2
	;; [unrolled: 1-line block ×3, first 2 shown]
	ds_load_b32 v52, v1 offset:1024
	ds_load_b32 v51, v2 offset:2048
	;; [unrolled: 1-line block ×8, first 2 shown]
	v_lshrrev_b32_e32 v3, 5, v26
	v_lshrrev_b32_e32 v38, 5, v25
	;; [unrolled: 1-line block ×3, first 2 shown]
	v_add_lshl_u32 v1, v43, v0, 2
	v_lshrrev_b32_e32 v40, 5, v13
	v_lshrrev_b32_e32 v41, 5, v7
	v_add_lshl_u32 v2, v45, v0, 2
	v_add_lshl_u32 v3, v3, v0, 2
	;; [unrolled: 1-line block ×6, first 2 shown]
	ds_load_b32 v45, v1 offset:9216
	ds_load_b32 v43, v2 offset:10240
	;; [unrolled: 1-line block ×7, first 2 shown]
	v_add_co_u32 v2, s3, s0, v6
	v_mov_b32_e32 v1, 0
	v_add_co_ci_u32_e64 v3, null, s1, 0, s3
	s_lshl_b32 s2, s20, 12
	s_mov_b32 s3, exec_lo
	s_sub_i32 s2, s30, s2
	s_delay_alu instid0(SALU_CYCLE_1)
	v_cmpx_gt_u32_e64 s2, v0
	s_cbranch_execnz .LBB32_335
; %bb.312:
	s_or_b32 exec_lo, exec_lo, s3
	s_delay_alu instid0(SALU_CYCLE_1)
	s_mov_b32 s3, exec_lo
	v_cmpx_gt_u32_e64 s2, v36
	s_cbranch_execnz .LBB32_336
.LBB32_313:
	s_or_b32 exec_lo, exec_lo, s3
	s_delay_alu instid0(SALU_CYCLE_1)
	s_mov_b32 s3, exec_lo
	v_cmpx_gt_u32_e64 s2, v35
	s_cbranch_execnz .LBB32_337
.LBB32_314:
	s_or_b32 exec_lo, exec_lo, s3
	s_delay_alu instid0(SALU_CYCLE_1)
	s_mov_b32 s3, exec_lo
	v_cmpx_gt_u32_e64 s2, v34
	s_cbranch_execnz .LBB32_338
.LBB32_315:
	s_or_b32 exec_lo, exec_lo, s3
	s_delay_alu instid0(SALU_CYCLE_1)
	s_mov_b32 s3, exec_lo
	v_cmpx_gt_u32_e64 s2, v33
	s_cbranch_execnz .LBB32_339
.LBB32_316:
	s_or_b32 exec_lo, exec_lo, s3
	s_delay_alu instid0(SALU_CYCLE_1)
	s_mov_b32 s3, exec_lo
	v_cmpx_gt_u32_e64 s2, v32
	s_cbranch_execnz .LBB32_340
.LBB32_317:
	s_or_b32 exec_lo, exec_lo, s3
	s_delay_alu instid0(SALU_CYCLE_1)
	s_mov_b32 s3, exec_lo
	v_cmpx_gt_u32_e64 s2, v31
	s_cbranch_execnz .LBB32_341
.LBB32_318:
	s_or_b32 exec_lo, exec_lo, s3
	s_delay_alu instid0(SALU_CYCLE_1)
	s_mov_b32 s3, exec_lo
	v_cmpx_gt_u32_e64 s2, v30
	s_cbranch_execnz .LBB32_342
.LBB32_319:
	s_or_b32 exec_lo, exec_lo, s3
	s_delay_alu instid0(SALU_CYCLE_1)
	s_mov_b32 s3, exec_lo
	v_cmpx_gt_u32_e64 s2, v29
	s_cbranch_execnz .LBB32_343
.LBB32_320:
	s_or_b32 exec_lo, exec_lo, s3
	s_delay_alu instid0(SALU_CYCLE_1)
	s_mov_b32 s3, exec_lo
	v_cmpx_gt_u32_e64 s2, v28
	s_cbranch_execnz .LBB32_344
.LBB32_321:
	s_or_b32 exec_lo, exec_lo, s3
	s_delay_alu instid0(SALU_CYCLE_1)
	s_mov_b32 s3, exec_lo
	v_cmpx_gt_u32_e64 s2, v27
	s_cbranch_execnz .LBB32_345
.LBB32_322:
	s_or_b32 exec_lo, exec_lo, s3
	s_delay_alu instid0(SALU_CYCLE_1)
	s_mov_b32 s3, exec_lo
	v_cmpx_gt_u32_e64 s2, v26
	s_cbranch_execnz .LBB32_346
.LBB32_323:
	s_or_b32 exec_lo, exec_lo, s3
	s_delay_alu instid0(SALU_CYCLE_1)
	s_mov_b32 s3, exec_lo
	v_cmpx_gt_u32_e64 s2, v25
	s_cbranch_execnz .LBB32_347
.LBB32_324:
	s_or_b32 exec_lo, exec_lo, s3
	s_delay_alu instid0(SALU_CYCLE_1)
	s_mov_b32 s3, exec_lo
	v_cmpx_gt_u32_e64 s2, v24
	s_cbranch_execnz .LBB32_348
.LBB32_325:
	s_or_b32 exec_lo, exec_lo, s3
	s_delay_alu instid0(SALU_CYCLE_1)
	s_mov_b32 s3, exec_lo
	v_cmpx_gt_u32_e64 s2, v13
	s_cbranch_execz .LBB32_327
.LBB32_326:
	v_add_co_u32 v2, vcc_lo, 0x3000, v2
	v_add_co_ci_u32_e32 v3, vcc_lo, 0, v3, vcc_lo
	s_waitcnt lgkmcnt(1)
	flat_store_b32 v[2:3], v39 offset:2048
.LBB32_327:
	s_or_b32 exec_lo, exec_lo, s3
	v_cmp_gt_u32_e64 s2, s2, v7
	s_branch .LBB32_330
.LBB32_328:
	s_mov_b32 s2, 0
                                        ; implicit-def: $vgpr38
	s_cbranch_execz .LBB32_330
; %bb.329:
	s_waitcnt lgkmcnt(0)
	v_and_b32_e32 v1, 0x1fc, v37
	s_waitcnt_vscnt null, 0x0
	s_barrier
	buffer_gl0_inv
	v_lshrrev_b32_e32 v2, 5, v35
	v_lshl_add_u32 v1, v0, 6, v1
	v_add_lshl_u32 v3, v12, v0, 2
	v_lshrrev_b32_e32 v12, 5, v28
	v_lshrrev_b32_e32 v7, 5, v7
	v_add_lshl_u32 v2, v2, v0, 2
	ds_store_2addr_b32 v1, v23, v4 offset1:1
	ds_store_2addr_b32 v1, v5, v8 offset0:2 offset1:3
	ds_store_2addr_b32 v1, v9, v10 offset0:4 offset1:5
	ds_store_2addr_b32 v1, v11, v14 offset0:6 offset1:7
	ds_store_2addr_b32 v1, v15, v16 offset0:8 offset1:9
	ds_store_2addr_b32 v1, v17, v18 offset0:10 offset1:11
	ds_store_2addr_b32 v1, v19, v20 offset0:12 offset1:13
	ds_store_2addr_b32 v1, v21, v22 offset0:14 offset1:15
	v_lshrrev_b32_e32 v1, 5, v36
	v_lshrrev_b32_e32 v4, 5, v34
	v_lshrrev_b32_e32 v5, 5, v33
	v_lshrrev_b32_e32 v8, 5, v32
	v_lshrrev_b32_e32 v9, 5, v31
	v_lshrrev_b32_e32 v10, 5, v30
	v_add_lshl_u32 v1, v1, v0, 2
	v_lshrrev_b32_e32 v11, 5, v29
	v_add_lshl_u32 v4, v4, v0, 2
	v_add_lshl_u32 v5, v5, v0, 2
	;; [unrolled: 1-line block ×5, first 2 shown]
	s_waitcnt lgkmcnt(0)
	s_barrier
	buffer_gl0_inv
	v_lshrrev_b32_e32 v14, 5, v27
	ds_load_b32 v15, v3
	ds_load_b32 v16, v1 offset:1024
	ds_load_b32 v17, v2 offset:2048
	;; [unrolled: 1-line block ×7, first 2 shown]
	v_lshrrev_b32_e32 v4, 5, v26
	v_add_lshl_u32 v1, v11, v0, 2
	v_add_lshl_u32 v2, v12, v0, 2
	v_lshrrev_b32_e32 v5, 5, v25
	v_lshrrev_b32_e32 v11, 5, v24
	;; [unrolled: 1-line block ×3, first 2 shown]
	v_add_lshl_u32 v3, v14, v0, 2
	v_add_lshl_u32 v4, v4, v0, 2
	;; [unrolled: 1-line block ×6, first 2 shown]
	ds_load_b32 v13, v1 offset:8192
	ds_load_b32 v14, v2 offset:9216
	;; [unrolled: 1-line block ×8, first 2 shown]
	v_add_co_u32 v2, s3, s0, v6
	s_delay_alu instid0(VALU_DEP_1) | instskip(SKIP_1) | instid1(VALU_DEP_3)
	v_add_co_ci_u32_e64 v3, null, s1, 0, s3
	v_mov_b32_e32 v1, 0
	v_add_co_u32 v4, vcc_lo, 0x1000, v2
	s_delay_alu instid0(VALU_DEP_3)
	v_add_co_ci_u32_e32 v5, vcc_lo, 0, v3, vcc_lo
	s_waitcnt lgkmcnt(15)
	flat_store_b32 v[2:3], v15
	s_waitcnt lgkmcnt(15)
	flat_store_b32 v[2:3], v16 offset:1024
	s_waitcnt lgkmcnt(15)
	flat_store_b32 v[2:3], v17 offset:2048
	;; [unrolled: 2-line block ×3, first 2 shown]
	s_waitcnt lgkmcnt(15)
	flat_store_b32 v[4:5], v19
	s_waitcnt lgkmcnt(15)
	flat_store_b32 v[4:5], v8 offset:1024
	s_waitcnt lgkmcnt(15)
	flat_store_b32 v[4:5], v9 offset:2048
	;; [unrolled: 2-line block ×3, first 2 shown]
	v_add_co_u32 v4, vcc_lo, 0x2000, v2
	v_add_co_ci_u32_e32 v5, vcc_lo, 0, v3, vcc_lo
	v_add_co_u32 v2, vcc_lo, 0x3000, v2
	s_or_b32 s2, s2, exec_lo
	v_add_co_ci_u32_e32 v3, vcc_lo, 0, v3, vcc_lo
	s_waitcnt lgkmcnt(15)
	flat_store_b32 v[4:5], v13
	s_waitcnt lgkmcnt(15)
	flat_store_b32 v[4:5], v14 offset:1024
	s_waitcnt lgkmcnt(15)
	flat_store_b32 v[4:5], v20 offset:2048
	;; [unrolled: 2-line block ×3, first 2 shown]
	s_waitcnt lgkmcnt(15)
	flat_store_b32 v[2:3], v22
	s_waitcnt lgkmcnt(15)
	flat_store_b32 v[2:3], v11 offset:1024
	s_waitcnt lgkmcnt(15)
	flat_store_b32 v[2:3], v12 offset:2048
.LBB32_330:
	s_delay_alu instid0(VALU_DEP_1)
	s_and_saveexec_b32 s3, s2
	s_cbranch_execnz .LBB32_332
; %bb.331:
	s_endpgm
.LBB32_332:
	s_waitcnt lgkmcnt(0)
	v_lshlrev_b64 v[0:1], 2, v[0:1]
	s_delay_alu instid0(VALU_DEP_1) | instskip(NEXT) | instid1(VALU_DEP_2)
	v_add_co_u32 v0, vcc_lo, s0, v0
	v_add_co_ci_u32_e32 v1, vcc_lo, s1, v1, vcc_lo
	s_delay_alu instid0(VALU_DEP_2) | instskip(NEXT) | instid1(VALU_DEP_2)
	v_add_co_u32 v0, vcc_lo, 0x3000, v0
	v_add_co_ci_u32_e32 v1, vcc_lo, 0, v1, vcc_lo
	flat_store_b32 v[0:1], v38 offset:3072
	s_endpgm
.LBB32_333:
	v_add_nc_u32_e32 v1, -1, v0
	s_delay_alu instid0(VALU_DEP_1) | instskip(NEXT) | instid1(VALU_DEP_1)
	v_lshrrev_b32_e32 v2, 5, v1
	v_add_lshl_u32 v1, v2, v1, 3
	ds_load_b32 v1, v1
	s_or_b32 exec_lo, exec_lo, s16
	s_and_saveexec_b32 s16, s0
	s_cbranch_execz .LBB32_307
.LBB32_334:
	v_dual_mov_b32 v2, 0 :: v_dual_and_b32 v3, 0xff, v36
	;;#ASMSTART
	;;#ASMEND
	s_delay_alu instid0(VALU_DEP_1) | instskip(SKIP_1) | instid1(VALU_DEP_1)
	v_cmp_eq_u64_e64 s0, 0, v[2:3]
	s_waitcnt lgkmcnt(0)
	v_cndmask_b32_e64 v1, 0, v1, s0
	s_delay_alu instid0(VALU_DEP_1) | instskip(NEXT) | instid1(VALU_DEP_1)
	v_add_nc_u32_e32 v35, v1, v35
	v_cndmask_b32_e64 v1, 0, v35, s1
	s_delay_alu instid0(VALU_DEP_1) | instskip(NEXT) | instid1(VALU_DEP_1)
	v_add_nc_u32_e32 v4, v1, v37
	;; [unrolled: 3-line block ×15, first 2 shown]
	v_cndmask_b32_e64 v1, 0, v21, s15
	s_delay_alu instid0(VALU_DEP_1)
	v_add_nc_u32_e32 v22, v1, v6
	s_or_b32 exec_lo, exec_lo, s16
	s_and_saveexec_b32 s0, vcc_lo
	s_cbranch_execnz .LBB32_308
	s_branch .LBB32_309
.LBB32_335:
	v_add_lshl_u32 v53, v12, v0, 2
	ds_load_b32 v53, v53
	s_waitcnt lgkmcnt(0)
	flat_store_b32 v[2:3], v53
	s_or_b32 exec_lo, exec_lo, s3
	s_delay_alu instid0(SALU_CYCLE_1)
	s_mov_b32 s3, exec_lo
	v_cmpx_gt_u32_e64 s2, v36
	s_cbranch_execz .LBB32_313
.LBB32_336:
	s_waitcnt lgkmcnt(14)
	flat_store_b32 v[2:3], v52 offset:1024
	s_or_b32 exec_lo, exec_lo, s3
	s_delay_alu instid0(SALU_CYCLE_1)
	s_mov_b32 s3, exec_lo
	v_cmpx_gt_u32_e64 s2, v35
	s_cbranch_execz .LBB32_314
.LBB32_337:
	s_waitcnt lgkmcnt(13)
	flat_store_b32 v[2:3], v51 offset:2048
	s_or_b32 exec_lo, exec_lo, s3
	s_delay_alu instid0(SALU_CYCLE_1)
	s_mov_b32 s3, exec_lo
	v_cmpx_gt_u32_e64 s2, v34
	s_cbranch_execz .LBB32_315
.LBB32_338:
	s_waitcnt lgkmcnt(12)
	flat_store_b32 v[2:3], v50 offset:3072
	s_or_b32 exec_lo, exec_lo, s3
	s_delay_alu instid0(SALU_CYCLE_1)
	s_mov_b32 s3, exec_lo
	v_cmpx_gt_u32_e64 s2, v33
	s_cbranch_execz .LBB32_316
.LBB32_339:
	s_waitcnt lgkmcnt(12)
	v_add_co_u32 v50, vcc_lo, 0x1000, v2
	v_add_co_ci_u32_e32 v51, vcc_lo, 0, v3, vcc_lo
	s_waitcnt lgkmcnt(11)
	flat_store_b32 v[50:51], v49
	s_or_b32 exec_lo, exec_lo, s3
	s_delay_alu instid0(SALU_CYCLE_1)
	s_mov_b32 s3, exec_lo
	v_cmpx_gt_u32_e64 s2, v32
	s_cbranch_execz .LBB32_317
.LBB32_340:
	s_waitcnt lgkmcnt(11)
	v_add_co_u32 v49, vcc_lo, 0x1000, v2
	v_add_co_ci_u32_e32 v50, vcc_lo, 0, v3, vcc_lo
	s_waitcnt lgkmcnt(10)
	flat_store_b32 v[49:50], v48 offset:1024
	s_or_b32 exec_lo, exec_lo, s3
	s_delay_alu instid0(SALU_CYCLE_1)
	s_mov_b32 s3, exec_lo
	v_cmpx_gt_u32_e64 s2, v31
	s_cbranch_execz .LBB32_318
.LBB32_341:
	s_waitcnt lgkmcnt(10)
	v_add_co_u32 v48, vcc_lo, 0x1000, v2
	v_add_co_ci_u32_e32 v49, vcc_lo, 0, v3, vcc_lo
	s_waitcnt lgkmcnt(9)
	flat_store_b32 v[48:49], v47 offset:2048
	s_or_b32 exec_lo, exec_lo, s3
	s_delay_alu instid0(SALU_CYCLE_1)
	s_mov_b32 s3, exec_lo
	v_cmpx_gt_u32_e64 s2, v30
	s_cbranch_execz .LBB32_319
.LBB32_342:
	s_waitcnt lgkmcnt(9)
	v_add_co_u32 v47, vcc_lo, 0x1000, v2
	v_add_co_ci_u32_e32 v48, vcc_lo, 0, v3, vcc_lo
	s_waitcnt lgkmcnt(8)
	flat_store_b32 v[47:48], v46 offset:3072
	s_or_b32 exec_lo, exec_lo, s3
	s_delay_alu instid0(SALU_CYCLE_1)
	s_mov_b32 s3, exec_lo
	v_cmpx_gt_u32_e64 s2, v29
	s_cbranch_execz .LBB32_320
.LBB32_343:
	s_waitcnt lgkmcnt(8)
	v_add_co_u32 v46, vcc_lo, 0x2000, v2
	v_add_co_ci_u32_e32 v47, vcc_lo, 0, v3, vcc_lo
	s_waitcnt lgkmcnt(7)
	flat_store_b32 v[46:47], v44
	s_or_b32 exec_lo, exec_lo, s3
	s_delay_alu instid0(SALU_CYCLE_1)
	s_mov_b32 s3, exec_lo
	v_cmpx_gt_u32_e64 s2, v28
	s_cbranch_execz .LBB32_321
.LBB32_344:
	s_waitcnt lgkmcnt(8)
	v_add_co_u32 v46, vcc_lo, 0x2000, v2
	v_add_co_ci_u32_e32 v47, vcc_lo, 0, v3, vcc_lo
	s_waitcnt lgkmcnt(6)
	flat_store_b32 v[46:47], v45 offset:1024
	s_or_b32 exec_lo, exec_lo, s3
	s_delay_alu instid0(SALU_CYCLE_1)
	s_mov_b32 s3, exec_lo
	v_cmpx_gt_u32_e64 s2, v27
	s_cbranch_execz .LBB32_322
.LBB32_345:
	s_waitcnt lgkmcnt(7)
	v_add_co_u32 v44, vcc_lo, 0x2000, v2
	s_waitcnt lgkmcnt(6)
	v_add_co_ci_u32_e32 v45, vcc_lo, 0, v3, vcc_lo
	s_waitcnt lgkmcnt(5)
	flat_store_b32 v[44:45], v43 offset:2048
	s_or_b32 exec_lo, exec_lo, s3
	s_delay_alu instid0(SALU_CYCLE_1)
	s_mov_b32 s3, exec_lo
	v_cmpx_gt_u32_e64 s2, v26
	s_cbranch_execz .LBB32_323
.LBB32_346:
	s_waitcnt lgkmcnt(5)
	v_add_co_u32 v43, vcc_lo, 0x2000, v2
	v_add_co_ci_u32_e32 v44, vcc_lo, 0, v3, vcc_lo
	s_waitcnt lgkmcnt(4)
	flat_store_b32 v[43:44], v42 offset:3072
	s_or_b32 exec_lo, exec_lo, s3
	s_delay_alu instid0(SALU_CYCLE_1)
	s_mov_b32 s3, exec_lo
	v_cmpx_gt_u32_e64 s2, v25
	s_cbranch_execz .LBB32_324
.LBB32_347:
	s_waitcnt lgkmcnt(4)
	v_add_co_u32 v42, vcc_lo, 0x3000, v2
	v_add_co_ci_u32_e32 v43, vcc_lo, 0, v3, vcc_lo
	s_waitcnt lgkmcnt(3)
	flat_store_b32 v[42:43], v41
	s_or_b32 exec_lo, exec_lo, s3
	s_delay_alu instid0(SALU_CYCLE_1)
	s_mov_b32 s3, exec_lo
	v_cmpx_gt_u32_e64 s2, v24
	s_cbranch_execz .LBB32_325
.LBB32_348:
	s_waitcnt lgkmcnt(3)
	v_add_co_u32 v41, vcc_lo, 0x3000, v2
	v_add_co_ci_u32_e32 v42, vcc_lo, 0, v3, vcc_lo
	s_waitcnt lgkmcnt(2)
	flat_store_b32 v[41:42], v40 offset:1024
	s_or_b32 exec_lo, exec_lo, s3
	s_delay_alu instid0(SALU_CYCLE_1)
	s_mov_b32 s3, exec_lo
	v_cmpx_gt_u32_e64 s2, v13
	s_cbranch_execnz .LBB32_326
	s_branch .LBB32_327
.LBB32_349:
                                        ; implicit-def: $vgpr33_vgpr34
	s_branch .LBB32_249
.LBB32_350:
                                        ; implicit-def: $vgpr33_vgpr34
	s_branch .LBB32_108
.LBB32_351:
                                        ; implicit-def: $vgpr33_vgpr34
	s_branch .LBB32_245
	.section	.rodata,"a",@progbits
	.p2align	6, 0x0
	.amdhsa_kernel _ZN7rocprim17ROCPRIM_400000_NS6detail17trampoline_kernelINS0_14default_configENS1_27scan_by_key_config_selectorImiEEZZNS1_16scan_by_key_implILNS1_25lookback_scan_determinismE0ELb0ES3_N6thrust23THRUST_200600_302600_NS18transform_iteratorI9row_indexNS9_17counting_iteratorImNS9_11use_defaultESD_SD_EESD_SD_EENS9_6detail15normal_iteratorINS9_10device_ptrIiEEEESK_iNS9_4plusIvEENS9_8equal_toIvEEiEE10hipError_tPvRmT2_T3_T4_T5_mT6_T7_P12ihipStream_tbENKUlT_T0_E_clISt17integral_constantIbLb1EES14_IbLb0EEEEDaS10_S11_EUlS10_E_NS1_11comp_targetILNS1_3genE9ELNS1_11target_archE1100ELNS1_3gpuE3ELNS1_3repE0EEENS1_30default_config_static_selectorELNS0_4arch9wavefront6targetE0EEEvT1_
		.amdhsa_group_segment_fixed_size 37888
		.amdhsa_private_segment_fixed_size 0
		.amdhsa_kernarg_size 120
		.amdhsa_user_sgpr_count 15
		.amdhsa_user_sgpr_dispatch_ptr 0
		.amdhsa_user_sgpr_queue_ptr 0
		.amdhsa_user_sgpr_kernarg_segment_ptr 1
		.amdhsa_user_sgpr_dispatch_id 0
		.amdhsa_user_sgpr_private_segment_size 0
		.amdhsa_wavefront_size32 1
		.amdhsa_uses_dynamic_stack 0
		.amdhsa_enable_private_segment 0
		.amdhsa_system_sgpr_workgroup_id_x 1
		.amdhsa_system_sgpr_workgroup_id_y 0
		.amdhsa_system_sgpr_workgroup_id_z 0
		.amdhsa_system_sgpr_workgroup_info 0
		.amdhsa_system_vgpr_workitem_id 0
		.amdhsa_next_free_vgpr 75
		.amdhsa_next_free_sgpr 58
		.amdhsa_reserve_vcc 1
		.amdhsa_float_round_mode_32 0
		.amdhsa_float_round_mode_16_64 0
		.amdhsa_float_denorm_mode_32 3
		.amdhsa_float_denorm_mode_16_64 3
		.amdhsa_dx10_clamp 1
		.amdhsa_ieee_mode 1
		.amdhsa_fp16_overflow 0
		.amdhsa_workgroup_processor_mode 1
		.amdhsa_memory_ordered 1
		.amdhsa_forward_progress 0
		.amdhsa_shared_vgpr_count 0
		.amdhsa_exception_fp_ieee_invalid_op 0
		.amdhsa_exception_fp_denorm_src 0
		.amdhsa_exception_fp_ieee_div_zero 0
		.amdhsa_exception_fp_ieee_overflow 0
		.amdhsa_exception_fp_ieee_underflow 0
		.amdhsa_exception_fp_ieee_inexact 0
		.amdhsa_exception_int_div_zero 0
	.end_amdhsa_kernel
	.section	.text._ZN7rocprim17ROCPRIM_400000_NS6detail17trampoline_kernelINS0_14default_configENS1_27scan_by_key_config_selectorImiEEZZNS1_16scan_by_key_implILNS1_25lookback_scan_determinismE0ELb0ES3_N6thrust23THRUST_200600_302600_NS18transform_iteratorI9row_indexNS9_17counting_iteratorImNS9_11use_defaultESD_SD_EESD_SD_EENS9_6detail15normal_iteratorINS9_10device_ptrIiEEEESK_iNS9_4plusIvEENS9_8equal_toIvEEiEE10hipError_tPvRmT2_T3_T4_T5_mT6_T7_P12ihipStream_tbENKUlT_T0_E_clISt17integral_constantIbLb1EES14_IbLb0EEEEDaS10_S11_EUlS10_E_NS1_11comp_targetILNS1_3genE9ELNS1_11target_archE1100ELNS1_3gpuE3ELNS1_3repE0EEENS1_30default_config_static_selectorELNS0_4arch9wavefront6targetE0EEEvT1_,"axG",@progbits,_ZN7rocprim17ROCPRIM_400000_NS6detail17trampoline_kernelINS0_14default_configENS1_27scan_by_key_config_selectorImiEEZZNS1_16scan_by_key_implILNS1_25lookback_scan_determinismE0ELb0ES3_N6thrust23THRUST_200600_302600_NS18transform_iteratorI9row_indexNS9_17counting_iteratorImNS9_11use_defaultESD_SD_EESD_SD_EENS9_6detail15normal_iteratorINS9_10device_ptrIiEEEESK_iNS9_4plusIvEENS9_8equal_toIvEEiEE10hipError_tPvRmT2_T3_T4_T5_mT6_T7_P12ihipStream_tbENKUlT_T0_E_clISt17integral_constantIbLb1EES14_IbLb0EEEEDaS10_S11_EUlS10_E_NS1_11comp_targetILNS1_3genE9ELNS1_11target_archE1100ELNS1_3gpuE3ELNS1_3repE0EEENS1_30default_config_static_selectorELNS0_4arch9wavefront6targetE0EEEvT1_,comdat
.Lfunc_end32:
	.size	_ZN7rocprim17ROCPRIM_400000_NS6detail17trampoline_kernelINS0_14default_configENS1_27scan_by_key_config_selectorImiEEZZNS1_16scan_by_key_implILNS1_25lookback_scan_determinismE0ELb0ES3_N6thrust23THRUST_200600_302600_NS18transform_iteratorI9row_indexNS9_17counting_iteratorImNS9_11use_defaultESD_SD_EESD_SD_EENS9_6detail15normal_iteratorINS9_10device_ptrIiEEEESK_iNS9_4plusIvEENS9_8equal_toIvEEiEE10hipError_tPvRmT2_T3_T4_T5_mT6_T7_P12ihipStream_tbENKUlT_T0_E_clISt17integral_constantIbLb1EES14_IbLb0EEEEDaS10_S11_EUlS10_E_NS1_11comp_targetILNS1_3genE9ELNS1_11target_archE1100ELNS1_3gpuE3ELNS1_3repE0EEENS1_30default_config_static_selectorELNS0_4arch9wavefront6targetE0EEEvT1_, .Lfunc_end32-_ZN7rocprim17ROCPRIM_400000_NS6detail17trampoline_kernelINS0_14default_configENS1_27scan_by_key_config_selectorImiEEZZNS1_16scan_by_key_implILNS1_25lookback_scan_determinismE0ELb0ES3_N6thrust23THRUST_200600_302600_NS18transform_iteratorI9row_indexNS9_17counting_iteratorImNS9_11use_defaultESD_SD_EESD_SD_EENS9_6detail15normal_iteratorINS9_10device_ptrIiEEEESK_iNS9_4plusIvEENS9_8equal_toIvEEiEE10hipError_tPvRmT2_T3_T4_T5_mT6_T7_P12ihipStream_tbENKUlT_T0_E_clISt17integral_constantIbLb1EES14_IbLb0EEEEDaS10_S11_EUlS10_E_NS1_11comp_targetILNS1_3genE9ELNS1_11target_archE1100ELNS1_3gpuE3ELNS1_3repE0EEENS1_30default_config_static_selectorELNS0_4arch9wavefront6targetE0EEEvT1_
                                        ; -- End function
	.section	.AMDGPU.csdata,"",@progbits
; Kernel info:
; codeLenInByte = 48924
; NumSgprs: 60
; NumVgprs: 75
; ScratchSize: 0
; MemoryBound: 0
; FloatMode: 240
; IeeeMode: 1
; LDSByteSize: 37888 bytes/workgroup (compile time only)
; SGPRBlocks: 7
; VGPRBlocks: 9
; NumSGPRsForWavesPerEU: 60
; NumVGPRsForWavesPerEU: 75
; Occupancy: 6
; WaveLimiterHint : 1
; COMPUTE_PGM_RSRC2:SCRATCH_EN: 0
; COMPUTE_PGM_RSRC2:USER_SGPR: 15
; COMPUTE_PGM_RSRC2:TRAP_HANDLER: 0
; COMPUTE_PGM_RSRC2:TGID_X_EN: 1
; COMPUTE_PGM_RSRC2:TGID_Y_EN: 0
; COMPUTE_PGM_RSRC2:TGID_Z_EN: 0
; COMPUTE_PGM_RSRC2:TIDIG_COMP_CNT: 0
	.section	.text._ZN7rocprim17ROCPRIM_400000_NS6detail17trampoline_kernelINS0_14default_configENS1_27scan_by_key_config_selectorImiEEZZNS1_16scan_by_key_implILNS1_25lookback_scan_determinismE0ELb0ES3_N6thrust23THRUST_200600_302600_NS18transform_iteratorI9row_indexNS9_17counting_iteratorImNS9_11use_defaultESD_SD_EESD_SD_EENS9_6detail15normal_iteratorINS9_10device_ptrIiEEEESK_iNS9_4plusIvEENS9_8equal_toIvEEiEE10hipError_tPvRmT2_T3_T4_T5_mT6_T7_P12ihipStream_tbENKUlT_T0_E_clISt17integral_constantIbLb1EES14_IbLb0EEEEDaS10_S11_EUlS10_E_NS1_11comp_targetILNS1_3genE8ELNS1_11target_archE1030ELNS1_3gpuE2ELNS1_3repE0EEENS1_30default_config_static_selectorELNS0_4arch9wavefront6targetE0EEEvT1_,"axG",@progbits,_ZN7rocprim17ROCPRIM_400000_NS6detail17trampoline_kernelINS0_14default_configENS1_27scan_by_key_config_selectorImiEEZZNS1_16scan_by_key_implILNS1_25lookback_scan_determinismE0ELb0ES3_N6thrust23THRUST_200600_302600_NS18transform_iteratorI9row_indexNS9_17counting_iteratorImNS9_11use_defaultESD_SD_EESD_SD_EENS9_6detail15normal_iteratorINS9_10device_ptrIiEEEESK_iNS9_4plusIvEENS9_8equal_toIvEEiEE10hipError_tPvRmT2_T3_T4_T5_mT6_T7_P12ihipStream_tbENKUlT_T0_E_clISt17integral_constantIbLb1EES14_IbLb0EEEEDaS10_S11_EUlS10_E_NS1_11comp_targetILNS1_3genE8ELNS1_11target_archE1030ELNS1_3gpuE2ELNS1_3repE0EEENS1_30default_config_static_selectorELNS0_4arch9wavefront6targetE0EEEvT1_,comdat
	.protected	_ZN7rocprim17ROCPRIM_400000_NS6detail17trampoline_kernelINS0_14default_configENS1_27scan_by_key_config_selectorImiEEZZNS1_16scan_by_key_implILNS1_25lookback_scan_determinismE0ELb0ES3_N6thrust23THRUST_200600_302600_NS18transform_iteratorI9row_indexNS9_17counting_iteratorImNS9_11use_defaultESD_SD_EESD_SD_EENS9_6detail15normal_iteratorINS9_10device_ptrIiEEEESK_iNS9_4plusIvEENS9_8equal_toIvEEiEE10hipError_tPvRmT2_T3_T4_T5_mT6_T7_P12ihipStream_tbENKUlT_T0_E_clISt17integral_constantIbLb1EES14_IbLb0EEEEDaS10_S11_EUlS10_E_NS1_11comp_targetILNS1_3genE8ELNS1_11target_archE1030ELNS1_3gpuE2ELNS1_3repE0EEENS1_30default_config_static_selectorELNS0_4arch9wavefront6targetE0EEEvT1_ ; -- Begin function _ZN7rocprim17ROCPRIM_400000_NS6detail17trampoline_kernelINS0_14default_configENS1_27scan_by_key_config_selectorImiEEZZNS1_16scan_by_key_implILNS1_25lookback_scan_determinismE0ELb0ES3_N6thrust23THRUST_200600_302600_NS18transform_iteratorI9row_indexNS9_17counting_iteratorImNS9_11use_defaultESD_SD_EESD_SD_EENS9_6detail15normal_iteratorINS9_10device_ptrIiEEEESK_iNS9_4plusIvEENS9_8equal_toIvEEiEE10hipError_tPvRmT2_T3_T4_T5_mT6_T7_P12ihipStream_tbENKUlT_T0_E_clISt17integral_constantIbLb1EES14_IbLb0EEEEDaS10_S11_EUlS10_E_NS1_11comp_targetILNS1_3genE8ELNS1_11target_archE1030ELNS1_3gpuE2ELNS1_3repE0EEENS1_30default_config_static_selectorELNS0_4arch9wavefront6targetE0EEEvT1_
	.globl	_ZN7rocprim17ROCPRIM_400000_NS6detail17trampoline_kernelINS0_14default_configENS1_27scan_by_key_config_selectorImiEEZZNS1_16scan_by_key_implILNS1_25lookback_scan_determinismE0ELb0ES3_N6thrust23THRUST_200600_302600_NS18transform_iteratorI9row_indexNS9_17counting_iteratorImNS9_11use_defaultESD_SD_EESD_SD_EENS9_6detail15normal_iteratorINS9_10device_ptrIiEEEESK_iNS9_4plusIvEENS9_8equal_toIvEEiEE10hipError_tPvRmT2_T3_T4_T5_mT6_T7_P12ihipStream_tbENKUlT_T0_E_clISt17integral_constantIbLb1EES14_IbLb0EEEEDaS10_S11_EUlS10_E_NS1_11comp_targetILNS1_3genE8ELNS1_11target_archE1030ELNS1_3gpuE2ELNS1_3repE0EEENS1_30default_config_static_selectorELNS0_4arch9wavefront6targetE0EEEvT1_
	.p2align	8
	.type	_ZN7rocprim17ROCPRIM_400000_NS6detail17trampoline_kernelINS0_14default_configENS1_27scan_by_key_config_selectorImiEEZZNS1_16scan_by_key_implILNS1_25lookback_scan_determinismE0ELb0ES3_N6thrust23THRUST_200600_302600_NS18transform_iteratorI9row_indexNS9_17counting_iteratorImNS9_11use_defaultESD_SD_EESD_SD_EENS9_6detail15normal_iteratorINS9_10device_ptrIiEEEESK_iNS9_4plusIvEENS9_8equal_toIvEEiEE10hipError_tPvRmT2_T3_T4_T5_mT6_T7_P12ihipStream_tbENKUlT_T0_E_clISt17integral_constantIbLb1EES14_IbLb0EEEEDaS10_S11_EUlS10_E_NS1_11comp_targetILNS1_3genE8ELNS1_11target_archE1030ELNS1_3gpuE2ELNS1_3repE0EEENS1_30default_config_static_selectorELNS0_4arch9wavefront6targetE0EEEvT1_,@function
_ZN7rocprim17ROCPRIM_400000_NS6detail17trampoline_kernelINS0_14default_configENS1_27scan_by_key_config_selectorImiEEZZNS1_16scan_by_key_implILNS1_25lookback_scan_determinismE0ELb0ES3_N6thrust23THRUST_200600_302600_NS18transform_iteratorI9row_indexNS9_17counting_iteratorImNS9_11use_defaultESD_SD_EESD_SD_EENS9_6detail15normal_iteratorINS9_10device_ptrIiEEEESK_iNS9_4plusIvEENS9_8equal_toIvEEiEE10hipError_tPvRmT2_T3_T4_T5_mT6_T7_P12ihipStream_tbENKUlT_T0_E_clISt17integral_constantIbLb1EES14_IbLb0EEEEDaS10_S11_EUlS10_E_NS1_11comp_targetILNS1_3genE8ELNS1_11target_archE1030ELNS1_3gpuE2ELNS1_3repE0EEENS1_30default_config_static_selectorELNS0_4arch9wavefront6targetE0EEEvT1_: ; @_ZN7rocprim17ROCPRIM_400000_NS6detail17trampoline_kernelINS0_14default_configENS1_27scan_by_key_config_selectorImiEEZZNS1_16scan_by_key_implILNS1_25lookback_scan_determinismE0ELb0ES3_N6thrust23THRUST_200600_302600_NS18transform_iteratorI9row_indexNS9_17counting_iteratorImNS9_11use_defaultESD_SD_EESD_SD_EENS9_6detail15normal_iteratorINS9_10device_ptrIiEEEESK_iNS9_4plusIvEENS9_8equal_toIvEEiEE10hipError_tPvRmT2_T3_T4_T5_mT6_T7_P12ihipStream_tbENKUlT_T0_E_clISt17integral_constantIbLb1EES14_IbLb0EEEEDaS10_S11_EUlS10_E_NS1_11comp_targetILNS1_3genE8ELNS1_11target_archE1030ELNS1_3gpuE2ELNS1_3repE0EEENS1_30default_config_static_selectorELNS0_4arch9wavefront6targetE0EEEvT1_
; %bb.0:
	.section	.rodata,"a",@progbits
	.p2align	6, 0x0
	.amdhsa_kernel _ZN7rocprim17ROCPRIM_400000_NS6detail17trampoline_kernelINS0_14default_configENS1_27scan_by_key_config_selectorImiEEZZNS1_16scan_by_key_implILNS1_25lookback_scan_determinismE0ELb0ES3_N6thrust23THRUST_200600_302600_NS18transform_iteratorI9row_indexNS9_17counting_iteratorImNS9_11use_defaultESD_SD_EESD_SD_EENS9_6detail15normal_iteratorINS9_10device_ptrIiEEEESK_iNS9_4plusIvEENS9_8equal_toIvEEiEE10hipError_tPvRmT2_T3_T4_T5_mT6_T7_P12ihipStream_tbENKUlT_T0_E_clISt17integral_constantIbLb1EES14_IbLb0EEEEDaS10_S11_EUlS10_E_NS1_11comp_targetILNS1_3genE8ELNS1_11target_archE1030ELNS1_3gpuE2ELNS1_3repE0EEENS1_30default_config_static_selectorELNS0_4arch9wavefront6targetE0EEEvT1_
		.amdhsa_group_segment_fixed_size 0
		.amdhsa_private_segment_fixed_size 0
		.amdhsa_kernarg_size 120
		.amdhsa_user_sgpr_count 15
		.amdhsa_user_sgpr_dispatch_ptr 0
		.amdhsa_user_sgpr_queue_ptr 0
		.amdhsa_user_sgpr_kernarg_segment_ptr 1
		.amdhsa_user_sgpr_dispatch_id 0
		.amdhsa_user_sgpr_private_segment_size 0
		.amdhsa_wavefront_size32 1
		.amdhsa_uses_dynamic_stack 0
		.amdhsa_enable_private_segment 0
		.amdhsa_system_sgpr_workgroup_id_x 1
		.amdhsa_system_sgpr_workgroup_id_y 0
		.amdhsa_system_sgpr_workgroup_id_z 0
		.amdhsa_system_sgpr_workgroup_info 0
		.amdhsa_system_vgpr_workitem_id 0
		.amdhsa_next_free_vgpr 1
		.amdhsa_next_free_sgpr 1
		.amdhsa_reserve_vcc 0
		.amdhsa_float_round_mode_32 0
		.amdhsa_float_round_mode_16_64 0
		.amdhsa_float_denorm_mode_32 3
		.amdhsa_float_denorm_mode_16_64 3
		.amdhsa_dx10_clamp 1
		.amdhsa_ieee_mode 1
		.amdhsa_fp16_overflow 0
		.amdhsa_workgroup_processor_mode 1
		.amdhsa_memory_ordered 1
		.amdhsa_forward_progress 0
		.amdhsa_shared_vgpr_count 0
		.amdhsa_exception_fp_ieee_invalid_op 0
		.amdhsa_exception_fp_denorm_src 0
		.amdhsa_exception_fp_ieee_div_zero 0
		.amdhsa_exception_fp_ieee_overflow 0
		.amdhsa_exception_fp_ieee_underflow 0
		.amdhsa_exception_fp_ieee_inexact 0
		.amdhsa_exception_int_div_zero 0
	.end_amdhsa_kernel
	.section	.text._ZN7rocprim17ROCPRIM_400000_NS6detail17trampoline_kernelINS0_14default_configENS1_27scan_by_key_config_selectorImiEEZZNS1_16scan_by_key_implILNS1_25lookback_scan_determinismE0ELb0ES3_N6thrust23THRUST_200600_302600_NS18transform_iteratorI9row_indexNS9_17counting_iteratorImNS9_11use_defaultESD_SD_EESD_SD_EENS9_6detail15normal_iteratorINS9_10device_ptrIiEEEESK_iNS9_4plusIvEENS9_8equal_toIvEEiEE10hipError_tPvRmT2_T3_T4_T5_mT6_T7_P12ihipStream_tbENKUlT_T0_E_clISt17integral_constantIbLb1EES14_IbLb0EEEEDaS10_S11_EUlS10_E_NS1_11comp_targetILNS1_3genE8ELNS1_11target_archE1030ELNS1_3gpuE2ELNS1_3repE0EEENS1_30default_config_static_selectorELNS0_4arch9wavefront6targetE0EEEvT1_,"axG",@progbits,_ZN7rocprim17ROCPRIM_400000_NS6detail17trampoline_kernelINS0_14default_configENS1_27scan_by_key_config_selectorImiEEZZNS1_16scan_by_key_implILNS1_25lookback_scan_determinismE0ELb0ES3_N6thrust23THRUST_200600_302600_NS18transform_iteratorI9row_indexNS9_17counting_iteratorImNS9_11use_defaultESD_SD_EESD_SD_EENS9_6detail15normal_iteratorINS9_10device_ptrIiEEEESK_iNS9_4plusIvEENS9_8equal_toIvEEiEE10hipError_tPvRmT2_T3_T4_T5_mT6_T7_P12ihipStream_tbENKUlT_T0_E_clISt17integral_constantIbLb1EES14_IbLb0EEEEDaS10_S11_EUlS10_E_NS1_11comp_targetILNS1_3genE8ELNS1_11target_archE1030ELNS1_3gpuE2ELNS1_3repE0EEENS1_30default_config_static_selectorELNS0_4arch9wavefront6targetE0EEEvT1_,comdat
.Lfunc_end33:
	.size	_ZN7rocprim17ROCPRIM_400000_NS6detail17trampoline_kernelINS0_14default_configENS1_27scan_by_key_config_selectorImiEEZZNS1_16scan_by_key_implILNS1_25lookback_scan_determinismE0ELb0ES3_N6thrust23THRUST_200600_302600_NS18transform_iteratorI9row_indexNS9_17counting_iteratorImNS9_11use_defaultESD_SD_EESD_SD_EENS9_6detail15normal_iteratorINS9_10device_ptrIiEEEESK_iNS9_4plusIvEENS9_8equal_toIvEEiEE10hipError_tPvRmT2_T3_T4_T5_mT6_T7_P12ihipStream_tbENKUlT_T0_E_clISt17integral_constantIbLb1EES14_IbLb0EEEEDaS10_S11_EUlS10_E_NS1_11comp_targetILNS1_3genE8ELNS1_11target_archE1030ELNS1_3gpuE2ELNS1_3repE0EEENS1_30default_config_static_selectorELNS0_4arch9wavefront6targetE0EEEvT1_, .Lfunc_end33-_ZN7rocprim17ROCPRIM_400000_NS6detail17trampoline_kernelINS0_14default_configENS1_27scan_by_key_config_selectorImiEEZZNS1_16scan_by_key_implILNS1_25lookback_scan_determinismE0ELb0ES3_N6thrust23THRUST_200600_302600_NS18transform_iteratorI9row_indexNS9_17counting_iteratorImNS9_11use_defaultESD_SD_EESD_SD_EENS9_6detail15normal_iteratorINS9_10device_ptrIiEEEESK_iNS9_4plusIvEENS9_8equal_toIvEEiEE10hipError_tPvRmT2_T3_T4_T5_mT6_T7_P12ihipStream_tbENKUlT_T0_E_clISt17integral_constantIbLb1EES14_IbLb0EEEEDaS10_S11_EUlS10_E_NS1_11comp_targetILNS1_3genE8ELNS1_11target_archE1030ELNS1_3gpuE2ELNS1_3repE0EEENS1_30default_config_static_selectorELNS0_4arch9wavefront6targetE0EEEvT1_
                                        ; -- End function
	.section	.AMDGPU.csdata,"",@progbits
; Kernel info:
; codeLenInByte = 0
; NumSgprs: 0
; NumVgprs: 0
; ScratchSize: 0
; MemoryBound: 0
; FloatMode: 240
; IeeeMode: 1
; LDSByteSize: 0 bytes/workgroup (compile time only)
; SGPRBlocks: 0
; VGPRBlocks: 0
; NumSGPRsForWavesPerEU: 1
; NumVGPRsForWavesPerEU: 1
; Occupancy: 16
; WaveLimiterHint : 0
; COMPUTE_PGM_RSRC2:SCRATCH_EN: 0
; COMPUTE_PGM_RSRC2:USER_SGPR: 15
; COMPUTE_PGM_RSRC2:TRAP_HANDLER: 0
; COMPUTE_PGM_RSRC2:TGID_X_EN: 1
; COMPUTE_PGM_RSRC2:TGID_Y_EN: 0
; COMPUTE_PGM_RSRC2:TGID_Z_EN: 0
; COMPUTE_PGM_RSRC2:TIDIG_COMP_CNT: 0
	.section	.text._ZN7rocprim17ROCPRIM_400000_NS6detail30init_device_scan_by_key_kernelINS1_19lookback_scan_stateINS0_5tupleIJibEEELb0ELb1EEEN6thrust23THRUST_200600_302600_NS18transform_iteratorI9row_indexNS8_17counting_iteratorImNS8_11use_defaultESC_SC_EESC_SC_EEjNS1_16block_id_wrapperIjLb1EEEEEvT_jjPNSH_10value_typeET0_PNSt15iterator_traitsISK_E10value_typeEmT1_T2_,"axG",@progbits,_ZN7rocprim17ROCPRIM_400000_NS6detail30init_device_scan_by_key_kernelINS1_19lookback_scan_stateINS0_5tupleIJibEEELb0ELb1EEEN6thrust23THRUST_200600_302600_NS18transform_iteratorI9row_indexNS8_17counting_iteratorImNS8_11use_defaultESC_SC_EESC_SC_EEjNS1_16block_id_wrapperIjLb1EEEEEvT_jjPNSH_10value_typeET0_PNSt15iterator_traitsISK_E10value_typeEmT1_T2_,comdat
	.protected	_ZN7rocprim17ROCPRIM_400000_NS6detail30init_device_scan_by_key_kernelINS1_19lookback_scan_stateINS0_5tupleIJibEEELb0ELb1EEEN6thrust23THRUST_200600_302600_NS18transform_iteratorI9row_indexNS8_17counting_iteratorImNS8_11use_defaultESC_SC_EESC_SC_EEjNS1_16block_id_wrapperIjLb1EEEEEvT_jjPNSH_10value_typeET0_PNSt15iterator_traitsISK_E10value_typeEmT1_T2_ ; -- Begin function _ZN7rocprim17ROCPRIM_400000_NS6detail30init_device_scan_by_key_kernelINS1_19lookback_scan_stateINS0_5tupleIJibEEELb0ELb1EEEN6thrust23THRUST_200600_302600_NS18transform_iteratorI9row_indexNS8_17counting_iteratorImNS8_11use_defaultESC_SC_EESC_SC_EEjNS1_16block_id_wrapperIjLb1EEEEEvT_jjPNSH_10value_typeET0_PNSt15iterator_traitsISK_E10value_typeEmT1_T2_
	.globl	_ZN7rocprim17ROCPRIM_400000_NS6detail30init_device_scan_by_key_kernelINS1_19lookback_scan_stateINS0_5tupleIJibEEELb0ELb1EEEN6thrust23THRUST_200600_302600_NS18transform_iteratorI9row_indexNS8_17counting_iteratorImNS8_11use_defaultESC_SC_EESC_SC_EEjNS1_16block_id_wrapperIjLb1EEEEEvT_jjPNSH_10value_typeET0_PNSt15iterator_traitsISK_E10value_typeEmT1_T2_
	.p2align	8
	.type	_ZN7rocprim17ROCPRIM_400000_NS6detail30init_device_scan_by_key_kernelINS1_19lookback_scan_stateINS0_5tupleIJibEEELb0ELb1EEEN6thrust23THRUST_200600_302600_NS18transform_iteratorI9row_indexNS8_17counting_iteratorImNS8_11use_defaultESC_SC_EESC_SC_EEjNS1_16block_id_wrapperIjLb1EEEEEvT_jjPNSH_10value_typeET0_PNSt15iterator_traitsISK_E10value_typeEmT1_T2_,@function
_ZN7rocprim17ROCPRIM_400000_NS6detail30init_device_scan_by_key_kernelINS1_19lookback_scan_stateINS0_5tupleIJibEEELb0ELb1EEEN6thrust23THRUST_200600_302600_NS18transform_iteratorI9row_indexNS8_17counting_iteratorImNS8_11use_defaultESC_SC_EESC_SC_EEjNS1_16block_id_wrapperIjLb1EEEEEvT_jjPNSH_10value_typeET0_PNSt15iterator_traitsISK_E10value_typeEmT1_T2_: ; @_ZN7rocprim17ROCPRIM_400000_NS6detail30init_device_scan_by_key_kernelINS1_19lookback_scan_stateINS0_5tupleIJibEEELb0ELb1EEEN6thrust23THRUST_200600_302600_NS18transform_iteratorI9row_indexNS8_17counting_iteratorImNS8_11use_defaultESC_SC_EESC_SC_EEjNS1_16block_id_wrapperIjLb1EEEEEvT_jjPNSH_10value_typeET0_PNSt15iterator_traitsISK_E10value_typeEmT1_T2_
; %bb.0:
	s_clause 0x2
	s_load_b32 s2, s[0:1], 0x54
	s_load_b256 s[4:11], s[0:1], 0x0
	s_load_b32 s12, s[0:1], 0x48
	s_waitcnt lgkmcnt(0)
	s_and_b32 s13, s2, 0xffff
	s_cmp_eq_u64 s[8:9], 0
	v_mad_u64_u32 v[4:5], null, s15, s13, v[0:1]
	s_cbranch_scc1 .LBB34_8
; %bb.1:
	s_cmp_lt_u32 s7, s6
	s_mov_b32 s3, 0
	s_cselect_b32 s2, s7, 0
	s_mov_b32 s14, exec_lo
	s_delay_alu instid0(VALU_DEP_1)
	v_cmpx_eq_u32_e64 s2, v4
	s_cbranch_execz .LBB34_7
; %bb.2:
	s_add_i32 s2, s7, 32
	s_mov_b32 s7, exec_lo
	s_lshl_b64 s[2:3], s[2:3], 4
	v_mov_b32_e32 v6, 0
	s_add_u32 s2, s4, s2
	s_addc_u32 s3, s5, s3
	s_delay_alu instid0(SALU_CYCLE_1) | instskip(SKIP_2) | instid1(VALU_DEP_1)
	v_dual_mov_b32 v0, s2 :: v_dual_mov_b32 v1, s3
	;;#ASMSTART
	global_load_dwordx4 v[0:3], v[0:1] off glc	
s_waitcnt vmcnt(0)
	;;#ASMEND
	v_and_b32_e32 v5, 0xff, v2
	v_cmpx_eq_u64_e32 0, v[5:6]
	s_cbranch_execz .LBB34_6
; %bb.3:
	v_dual_mov_b32 v8, s3 :: v_dual_mov_b32 v7, s2
	s_mov_b32 s2, 0
.LBB34_4:                               ; =>This Inner Loop Header: Depth=1
	;;#ASMSTART
	global_load_dwordx4 v[0:3], v[7:8] off glc	
s_waitcnt vmcnt(0)
	;;#ASMEND
	v_and_b32_e32 v5, 0xff, v2
	s_delay_alu instid0(VALU_DEP_1) | instskip(SKIP_1) | instid1(SALU_CYCLE_1)
	v_cmp_ne_u64_e32 vcc_lo, 0, v[5:6]
	s_or_b32 s2, vcc_lo, s2
	s_and_not1_b32 exec_lo, exec_lo, s2
	s_cbranch_execnz .LBB34_4
; %bb.5:
	s_or_b32 exec_lo, exec_lo, s2
.LBB34_6:
	s_delay_alu instid0(SALU_CYCLE_1)
	s_or_b32 exec_lo, exec_lo, s7
	v_mov_b32_e32 v2, 0
	s_clause 0x1
	global_store_b32 v2, v0, s[8:9]
	global_store_b8 v2, v1, s[8:9] offset:4
.LBB34_7:
	s_or_b32 exec_lo, exec_lo, s14
.LBB34_8:
	s_delay_alu instid0(SALU_CYCLE_1) | instskip(NEXT) | instid1(VALU_DEP_1)
	s_mov_b32 s2, exec_lo
	v_cmpx_eq_u32_e32 0, v4
	s_cbranch_execz .LBB34_10
; %bb.9:
	s_load_b64 s[8:9], s[0:1], 0x40
	v_mov_b32_e32 v0, 0
	s_waitcnt lgkmcnt(0)
	global_store_b32 v0, v0, s[8:9]
.LBB34_10:
	s_or_b32 exec_lo, exec_lo, s2
	s_delay_alu instid0(SALU_CYCLE_1)
	s_mov_b32 s2, exec_lo
	v_cmpx_gt_u32_e64 s6, v4
	s_cbranch_execz .LBB34_12
; %bb.11:
	v_dual_mov_b32 v1, 0 :: v_dual_add_nc_u32 v0, 32, v4
	s_delay_alu instid0(VALU_DEP_1) | instskip(SKIP_3) | instid1(VALU_DEP_4)
	v_lshlrev_b64 v[5:6], 4, v[0:1]
	v_mov_b32_e32 v0, v1
	v_mov_b32_e32 v2, v1
	;; [unrolled: 1-line block ×3, first 2 shown]
	v_add_co_u32 v5, vcc_lo, s4, v5
	v_add_co_ci_u32_e32 v6, vcc_lo, s5, v6, vcc_lo
	global_store_b128 v[5:6], v[0:3], off
.LBB34_12:
	s_or_b32 exec_lo, exec_lo, s2
	v_mov_b32_e32 v5, 0
	s_mov_b32 s2, exec_lo
	v_cmpx_gt_u32_e32 32, v4
	s_cbranch_execz .LBB34_14
; %bb.13:
	s_delay_alu instid0(VALU_DEP_2) | instskip(SKIP_3) | instid1(VALU_DEP_4)
	v_lshlrev_b64 v[6:7], 4, v[4:5]
	v_dual_mov_b32 v2, 0xff :: v_dual_mov_b32 v1, v5
	v_mov_b32_e32 v0, v5
	v_mov_b32_e32 v3, v5
	v_add_co_u32 v6, vcc_lo, s4, v6
	v_add_co_ci_u32_e32 v7, vcc_lo, s5, v7, vcc_lo
	global_store_b128 v[6:7], v[0:3], off
.LBB34_14:
	s_or_b32 exec_lo, exec_lo, s2
	s_load_b64 s[2:3], s[0:1], 0x30
	s_mov_b32 s4, exec_lo
	s_waitcnt lgkmcnt(0)
	v_cmpx_gt_u64_e64 s[2:3], v[4:5]
	s_cbranch_execz .LBB34_21
; %bb.15:
	s_clause 0x1
	s_load_b128 s[4:7], s[0:1], 0x20
	s_load_b32 s14, s[0:1], 0x38
	s_mov_b32 s9, 0
	s_waitcnt lgkmcnt(0)
	v_cvt_f32_u32_e32 v0, s4
	v_cvt_f32_u32_e32 v1, s5
	;; [unrolled: 1-line block ×3, first 2 shown]
	s_add_i32 s0, s14, -1
	s_delay_alu instid0(SALU_CYCLE_1) | instskip(NEXT) | instid1(VALU_DEP_2)
	s_add_u32 s0, s0, s10
	v_fmamk_f32 v0, v1, 0x4f800000, v0
	s_delay_alu instid0(VALU_DEP_2) | instskip(SKIP_4) | instid1(VALU_DEP_1)
	v_rcp_iflag_f32_e32 v1, v2
	s_addc_u32 s1, 0, s11
	s_sub_i32 s8, 0, s4
	v_lshlrev_b64 v[2:3], 3, v[4:5]
	v_rcp_f32_e32 v0, v0
	v_add_co_u32 v2, vcc_lo, s6, v2
	s_waitcnt_depctr 0xfff
	v_mul_f32_e32 v1, 0x4f7ffffe, v1
	v_add_co_ci_u32_e32 v3, vcc_lo, s7, v3, vcc_lo
	v_mul_f32_e32 v6, 0x5f7ffffc, v0
	s_delay_alu instid0(VALU_DEP_1) | instskip(NEXT) | instid1(VALU_DEP_1)
	v_mul_f32_e32 v0, 0x2f800000, v6
	v_trunc_f32_e32 v8, v0
	v_mov_b32_e32 v0, 0
	v_cvt_u32_f32_e32 v1, v1
	s_delay_alu instid0(VALU_DEP_3) | instskip(SKIP_1) | instid1(VALU_DEP_3)
	v_fmamk_f32 v10, v8, 0xcf800000, v6
	v_cvt_u32_f32_e32 v11, v8
	v_mul_lo_u32 v7, s8, v1
	s_mul_i32 s8, s12, s13
	s_delay_alu instid0(VALU_DEP_3) | instskip(SKIP_2) | instid1(VALU_DEP_2)
	v_cvt_u32_f32_e32 v10, v10
	s_mul_i32 s10, s14, s8
	s_lshl_b64 s[6:7], s[8:9], 3
	v_mul_hi_u32 v9, v1, v7
	v_mad_u64_u32 v[6:7], null, s14, v4, s[0:1]
	s_mul_hi_u32 s1, s14, s8
	s_delay_alu instid0(VALU_DEP_2)
	v_add_nc_u32_e32 v12, v1, v9
	s_branch .LBB34_17
.LBB34_16:                              ;   in Loop: Header=BB34_17 Depth=1
	s_or_b32 exec_lo, exec_lo, s0
	v_add_co_u32 v4, vcc_lo, v4, s8
	v_add_co_ci_u32_e32 v5, vcc_lo, 0, v5, vcc_lo
	v_add_co_u32 v6, vcc_lo, v6, s10
	v_add_co_ci_u32_e32 v7, vcc_lo, s1, v7, vcc_lo
	s_delay_alu instid0(VALU_DEP_3) | instskip(SKIP_2) | instid1(VALU_DEP_1)
	v_cmp_le_u64_e32 vcc_lo, s[2:3], v[4:5]
	global_store_b64 v[2:3], v[8:9], off
	v_add_co_u32 v2, s0, v2, s6
	v_add_co_ci_u32_e64 v3, s0, s7, v3, s0
	s_or_b32 s9, vcc_lo, s9
	s_delay_alu instid0(SALU_CYCLE_1)
	s_and_not1_b32 exec_lo, exec_lo, s9
	s_cbranch_execz .LBB34_21
.LBB34_17:                              ; =>This Inner Loop Header: Depth=1
	s_delay_alu instid0(VALU_DEP_2) | instskip(SKIP_1) | instid1(VALU_DEP_1)
	v_or_b32_e32 v1, s5, v7
                                        ; implicit-def: $vgpr8_vgpr9
	s_mov_b32 s0, exec_lo
	v_cmpx_ne_u64_e32 0, v[0:1]
	s_xor_b32 s11, exec_lo, s0
	s_cbranch_execz .LBB34_19
; %bb.18:                               ;   in Loop: Header=BB34_17 Depth=1
	s_sub_u32 s0, 0, s4
	s_subb_u32 s12, 0, s5
	v_mul_hi_u32 v1, s0, v10
	v_mul_lo_u32 v8, s0, v11
	v_mul_lo_u32 v9, s12, v10
	s_delay_alu instid0(VALU_DEP_2) | instskip(SKIP_1) | instid1(VALU_DEP_2)
	v_add_nc_u32_e32 v1, v1, v8
	v_mul_lo_u32 v8, s0, v10
	v_add_nc_u32_e32 v1, v1, v9
	s_delay_alu instid0(VALU_DEP_2) | instskip(NEXT) | instid1(VALU_DEP_2)
	v_mul_hi_u32 v9, v10, v8
	v_mul_lo_u32 v13, v10, v1
	v_mul_hi_u32 v14, v10, v1
	v_mul_hi_u32 v15, v11, v8
	v_mul_lo_u32 v8, v11, v8
	v_mul_hi_u32 v16, v11, v1
	v_mul_lo_u32 v1, v11, v1
	v_add_co_u32 v9, vcc_lo, v9, v13
	v_add_co_ci_u32_e32 v13, vcc_lo, 0, v14, vcc_lo
	s_delay_alu instid0(VALU_DEP_2) | instskip(NEXT) | instid1(VALU_DEP_2)
	v_add_co_u32 v8, vcc_lo, v9, v8
	v_add_co_ci_u32_e32 v8, vcc_lo, v13, v15, vcc_lo
	v_add_co_ci_u32_e32 v9, vcc_lo, 0, v16, vcc_lo
	s_delay_alu instid0(VALU_DEP_2) | instskip(NEXT) | instid1(VALU_DEP_2)
	v_add_co_u32 v1, vcc_lo, v8, v1
	v_add_co_ci_u32_e32 v8, vcc_lo, 0, v9, vcc_lo
	s_delay_alu instid0(VALU_DEP_2) | instskip(NEXT) | instid1(VALU_DEP_2)
	v_add_co_u32 v1, vcc_lo, v10, v1
	v_add_co_ci_u32_e32 v8, vcc_lo, v11, v8, vcc_lo
	s_delay_alu instid0(VALU_DEP_2) | instskip(SKIP_1) | instid1(VALU_DEP_3)
	v_mul_hi_u32 v9, s0, v1
	v_mul_lo_u32 v14, s12, v1
	v_mul_lo_u32 v13, s0, v8
	s_delay_alu instid0(VALU_DEP_1) | instskip(SKIP_1) | instid1(VALU_DEP_2)
	v_add_nc_u32_e32 v9, v9, v13
	v_mul_lo_u32 v13, s0, v1
	v_add_nc_u32_e32 v9, v9, v14
	s_delay_alu instid0(VALU_DEP_2) | instskip(NEXT) | instid1(VALU_DEP_2)
	v_mul_hi_u32 v14, v1, v13
	v_mul_lo_u32 v15, v1, v9
	v_mul_hi_u32 v16, v1, v9
	v_mul_hi_u32 v17, v8, v13
	v_mul_lo_u32 v13, v8, v13
	v_mul_hi_u32 v18, v8, v9
	v_mul_lo_u32 v9, v8, v9
	v_add_co_u32 v14, vcc_lo, v14, v15
	v_add_co_ci_u32_e32 v15, vcc_lo, 0, v16, vcc_lo
	s_delay_alu instid0(VALU_DEP_2) | instskip(NEXT) | instid1(VALU_DEP_2)
	v_add_co_u32 v13, vcc_lo, v14, v13
	v_add_co_ci_u32_e32 v13, vcc_lo, v15, v17, vcc_lo
	v_add_co_ci_u32_e32 v14, vcc_lo, 0, v18, vcc_lo
	s_delay_alu instid0(VALU_DEP_2) | instskip(NEXT) | instid1(VALU_DEP_2)
	v_add_co_u32 v9, vcc_lo, v13, v9
	v_add_co_ci_u32_e32 v13, vcc_lo, 0, v14, vcc_lo
	s_delay_alu instid0(VALU_DEP_2) | instskip(NEXT) | instid1(VALU_DEP_2)
	v_add_co_u32 v1, vcc_lo, v1, v9
	v_add_co_ci_u32_e32 v17, vcc_lo, v8, v13, vcc_lo
	s_delay_alu instid0(VALU_DEP_2) | instskip(SKIP_1) | instid1(VALU_DEP_3)
	v_mul_hi_u32 v18, v6, v1
	v_mad_u64_u32 v[13:14], null, v7, v1, 0
	v_mad_u64_u32 v[8:9], null, v6, v17, 0
	;; [unrolled: 1-line block ×3, first 2 shown]
	s_delay_alu instid0(VALU_DEP_2) | instskip(NEXT) | instid1(VALU_DEP_3)
	v_add_co_u32 v1, vcc_lo, v18, v8
	v_add_co_ci_u32_e32 v8, vcc_lo, 0, v9, vcc_lo
	s_delay_alu instid0(VALU_DEP_2) | instskip(NEXT) | instid1(VALU_DEP_2)
	v_add_co_u32 v1, vcc_lo, v1, v13
	v_add_co_ci_u32_e32 v1, vcc_lo, v8, v14, vcc_lo
	v_add_co_ci_u32_e32 v8, vcc_lo, 0, v16, vcc_lo
	s_delay_alu instid0(VALU_DEP_2) | instskip(NEXT) | instid1(VALU_DEP_2)
	v_add_co_u32 v1, vcc_lo, v1, v15
	v_add_co_ci_u32_e32 v13, vcc_lo, 0, v8, vcc_lo
	s_delay_alu instid0(VALU_DEP_2) | instskip(SKIP_1) | instid1(VALU_DEP_3)
	v_mul_lo_u32 v14, s5, v1
	v_mad_u64_u32 v[8:9], null, s4, v1, 0
	v_mul_lo_u32 v15, s4, v13
	s_delay_alu instid0(VALU_DEP_2) | instskip(NEXT) | instid1(VALU_DEP_2)
	v_sub_co_u32 v8, vcc_lo, v6, v8
	v_add3_u32 v9, v9, v15, v14
	s_delay_alu instid0(VALU_DEP_1) | instskip(NEXT) | instid1(VALU_DEP_1)
	v_sub_nc_u32_e32 v14, v7, v9
	v_subrev_co_ci_u32_e64 v14, s0, s5, v14, vcc_lo
	v_add_co_u32 v15, s0, v1, 2
	s_delay_alu instid0(VALU_DEP_1) | instskip(SKIP_3) | instid1(VALU_DEP_3)
	v_add_co_ci_u32_e64 v16, s0, 0, v13, s0
	v_sub_co_u32 v17, s0, v8, s4
	v_sub_co_ci_u32_e32 v9, vcc_lo, v7, v9, vcc_lo
	v_subrev_co_ci_u32_e64 v14, s0, 0, v14, s0
	v_cmp_le_u32_e32 vcc_lo, s4, v17
	s_delay_alu instid0(VALU_DEP_3) | instskip(SKIP_1) | instid1(VALU_DEP_4)
	v_cmp_eq_u32_e64 s0, s5, v9
	v_cndmask_b32_e64 v17, 0, -1, vcc_lo
	v_cmp_le_u32_e32 vcc_lo, s5, v14
	v_cndmask_b32_e64 v18, 0, -1, vcc_lo
	v_cmp_le_u32_e32 vcc_lo, s4, v8
	;; [unrolled: 2-line block ×3, first 2 shown]
	v_cndmask_b32_e64 v19, 0, -1, vcc_lo
	v_cmp_eq_u32_e32 vcc_lo, s5, v14
	s_delay_alu instid0(VALU_DEP_2) | instskip(SKIP_3) | instid1(VALU_DEP_3)
	v_cndmask_b32_e64 v8, v19, v8, s0
	v_cndmask_b32_e32 v14, v18, v17, vcc_lo
	v_add_co_u32 v17, vcc_lo, v1, 1
	v_add_co_ci_u32_e32 v18, vcc_lo, 0, v13, vcc_lo
	v_cmp_ne_u32_e32 vcc_lo, 0, v14
	s_delay_alu instid0(VALU_DEP_2) | instskip(SKIP_1) | instid1(VALU_DEP_2)
	v_dual_cndmask_b32 v9, v18, v16 :: v_dual_cndmask_b32 v14, v17, v15
	v_cmp_ne_u32_e32 vcc_lo, 0, v8
	v_cndmask_b32_e32 v9, v13, v9, vcc_lo
	s_delay_alu instid0(VALU_DEP_3)
	v_cndmask_b32_e32 v8, v1, v14, vcc_lo
.LBB34_19:                              ;   in Loop: Header=BB34_17 Depth=1
	s_and_not1_saveexec_b32 s0, s11
	s_cbranch_execz .LBB34_16
; %bb.20:                               ;   in Loop: Header=BB34_17 Depth=1
	v_mul_hi_u32 v1, v6, v12
	s_delay_alu instid0(VALU_DEP_1) | instskip(SKIP_1) | instid1(VALU_DEP_2)
	v_mul_lo_u32 v8, v1, s4
	v_add_nc_u32_e32 v9, 1, v1
	v_sub_nc_u32_e32 v8, v6, v8
	s_delay_alu instid0(VALU_DEP_1) | instskip(SKIP_1) | instid1(VALU_DEP_2)
	v_subrev_nc_u32_e32 v13, s4, v8
	v_cmp_le_u32_e32 vcc_lo, s4, v8
	v_cndmask_b32_e32 v8, v8, v13, vcc_lo
	v_cndmask_b32_e32 v1, v1, v9, vcc_lo
	s_delay_alu instid0(VALU_DEP_2) | instskip(NEXT) | instid1(VALU_DEP_2)
	v_cmp_le_u32_e32 vcc_lo, s4, v8
	v_add_nc_u32_e32 v9, 1, v1
	s_delay_alu instid0(VALU_DEP_1)
	v_dual_cndmask_b32 v8, v1, v9 :: v_dual_mov_b32 v9, v0
	s_branch .LBB34_16
.LBB34_21:
	s_nop 0
	s_sendmsg sendmsg(MSG_DEALLOC_VGPRS)
	s_endpgm
	.section	.rodata,"a",@progbits
	.p2align	6, 0x0
	.amdhsa_kernel _ZN7rocprim17ROCPRIM_400000_NS6detail30init_device_scan_by_key_kernelINS1_19lookback_scan_stateINS0_5tupleIJibEEELb0ELb1EEEN6thrust23THRUST_200600_302600_NS18transform_iteratorI9row_indexNS8_17counting_iteratorImNS8_11use_defaultESC_SC_EESC_SC_EEjNS1_16block_id_wrapperIjLb1EEEEEvT_jjPNSH_10value_typeET0_PNSt15iterator_traitsISK_E10value_typeEmT1_T2_
		.amdhsa_group_segment_fixed_size 0
		.amdhsa_private_segment_fixed_size 0
		.amdhsa_kernarg_size 328
		.amdhsa_user_sgpr_count 15
		.amdhsa_user_sgpr_dispatch_ptr 0
		.amdhsa_user_sgpr_queue_ptr 0
		.amdhsa_user_sgpr_kernarg_segment_ptr 1
		.amdhsa_user_sgpr_dispatch_id 0
		.amdhsa_user_sgpr_private_segment_size 0
		.amdhsa_wavefront_size32 1
		.amdhsa_uses_dynamic_stack 0
		.amdhsa_enable_private_segment 0
		.amdhsa_system_sgpr_workgroup_id_x 1
		.amdhsa_system_sgpr_workgroup_id_y 0
		.amdhsa_system_sgpr_workgroup_id_z 0
		.amdhsa_system_sgpr_workgroup_info 0
		.amdhsa_system_vgpr_workitem_id 0
		.amdhsa_next_free_vgpr 20
		.amdhsa_next_free_sgpr 16
		.amdhsa_reserve_vcc 1
		.amdhsa_float_round_mode_32 0
		.amdhsa_float_round_mode_16_64 0
		.amdhsa_float_denorm_mode_32 3
		.amdhsa_float_denorm_mode_16_64 3
		.amdhsa_dx10_clamp 1
		.amdhsa_ieee_mode 1
		.amdhsa_fp16_overflow 0
		.amdhsa_workgroup_processor_mode 1
		.amdhsa_memory_ordered 1
		.amdhsa_forward_progress 0
		.amdhsa_shared_vgpr_count 0
		.amdhsa_exception_fp_ieee_invalid_op 0
		.amdhsa_exception_fp_denorm_src 0
		.amdhsa_exception_fp_ieee_div_zero 0
		.amdhsa_exception_fp_ieee_overflow 0
		.amdhsa_exception_fp_ieee_underflow 0
		.amdhsa_exception_fp_ieee_inexact 0
		.amdhsa_exception_int_div_zero 0
	.end_amdhsa_kernel
	.section	.text._ZN7rocprim17ROCPRIM_400000_NS6detail30init_device_scan_by_key_kernelINS1_19lookback_scan_stateINS0_5tupleIJibEEELb0ELb1EEEN6thrust23THRUST_200600_302600_NS18transform_iteratorI9row_indexNS8_17counting_iteratorImNS8_11use_defaultESC_SC_EESC_SC_EEjNS1_16block_id_wrapperIjLb1EEEEEvT_jjPNSH_10value_typeET0_PNSt15iterator_traitsISK_E10value_typeEmT1_T2_,"axG",@progbits,_ZN7rocprim17ROCPRIM_400000_NS6detail30init_device_scan_by_key_kernelINS1_19lookback_scan_stateINS0_5tupleIJibEEELb0ELb1EEEN6thrust23THRUST_200600_302600_NS18transform_iteratorI9row_indexNS8_17counting_iteratorImNS8_11use_defaultESC_SC_EESC_SC_EEjNS1_16block_id_wrapperIjLb1EEEEEvT_jjPNSH_10value_typeET0_PNSt15iterator_traitsISK_E10value_typeEmT1_T2_,comdat
.Lfunc_end34:
	.size	_ZN7rocprim17ROCPRIM_400000_NS6detail30init_device_scan_by_key_kernelINS1_19lookback_scan_stateINS0_5tupleIJibEEELb0ELb1EEEN6thrust23THRUST_200600_302600_NS18transform_iteratorI9row_indexNS8_17counting_iteratorImNS8_11use_defaultESC_SC_EESC_SC_EEjNS1_16block_id_wrapperIjLb1EEEEEvT_jjPNSH_10value_typeET0_PNSt15iterator_traitsISK_E10value_typeEmT1_T2_, .Lfunc_end34-_ZN7rocprim17ROCPRIM_400000_NS6detail30init_device_scan_by_key_kernelINS1_19lookback_scan_stateINS0_5tupleIJibEEELb0ELb1EEEN6thrust23THRUST_200600_302600_NS18transform_iteratorI9row_indexNS8_17counting_iteratorImNS8_11use_defaultESC_SC_EESC_SC_EEjNS1_16block_id_wrapperIjLb1EEEEEvT_jjPNSH_10value_typeET0_PNSt15iterator_traitsISK_E10value_typeEmT1_T2_
                                        ; -- End function
	.section	.AMDGPU.csdata,"",@progbits
; Kernel info:
; codeLenInByte = 1600
; NumSgprs: 18
; NumVgprs: 20
; ScratchSize: 0
; MemoryBound: 0
; FloatMode: 240
; IeeeMode: 1
; LDSByteSize: 0 bytes/workgroup (compile time only)
; SGPRBlocks: 2
; VGPRBlocks: 2
; NumSGPRsForWavesPerEU: 18
; NumVGPRsForWavesPerEU: 20
; Occupancy: 16
; WaveLimiterHint : 0
; COMPUTE_PGM_RSRC2:SCRATCH_EN: 0
; COMPUTE_PGM_RSRC2:USER_SGPR: 15
; COMPUTE_PGM_RSRC2:TRAP_HANDLER: 0
; COMPUTE_PGM_RSRC2:TGID_X_EN: 1
; COMPUTE_PGM_RSRC2:TGID_Y_EN: 0
; COMPUTE_PGM_RSRC2:TGID_Z_EN: 0
; COMPUTE_PGM_RSRC2:TIDIG_COMP_CNT: 0
	.section	.text._ZN7rocprim17ROCPRIM_400000_NS6detail30init_device_scan_by_key_kernelINS1_19lookback_scan_stateINS0_5tupleIJibEEELb0ELb1EEENS1_16block_id_wrapperIjLb1EEEEEvT_jjPNS9_10value_typeET0_,"axG",@progbits,_ZN7rocprim17ROCPRIM_400000_NS6detail30init_device_scan_by_key_kernelINS1_19lookback_scan_stateINS0_5tupleIJibEEELb0ELb1EEENS1_16block_id_wrapperIjLb1EEEEEvT_jjPNS9_10value_typeET0_,comdat
	.protected	_ZN7rocprim17ROCPRIM_400000_NS6detail30init_device_scan_by_key_kernelINS1_19lookback_scan_stateINS0_5tupleIJibEEELb0ELb1EEENS1_16block_id_wrapperIjLb1EEEEEvT_jjPNS9_10value_typeET0_ ; -- Begin function _ZN7rocprim17ROCPRIM_400000_NS6detail30init_device_scan_by_key_kernelINS1_19lookback_scan_stateINS0_5tupleIJibEEELb0ELb1EEENS1_16block_id_wrapperIjLb1EEEEEvT_jjPNS9_10value_typeET0_
	.globl	_ZN7rocprim17ROCPRIM_400000_NS6detail30init_device_scan_by_key_kernelINS1_19lookback_scan_stateINS0_5tupleIJibEEELb0ELb1EEENS1_16block_id_wrapperIjLb1EEEEEvT_jjPNS9_10value_typeET0_
	.p2align	8
	.type	_ZN7rocprim17ROCPRIM_400000_NS6detail30init_device_scan_by_key_kernelINS1_19lookback_scan_stateINS0_5tupleIJibEEELb0ELb1EEENS1_16block_id_wrapperIjLb1EEEEEvT_jjPNS9_10value_typeET0_,@function
_ZN7rocprim17ROCPRIM_400000_NS6detail30init_device_scan_by_key_kernelINS1_19lookback_scan_stateINS0_5tupleIJibEEELb0ELb1EEENS1_16block_id_wrapperIjLb1EEEEEvT_jjPNS9_10value_typeET0_: ; @_ZN7rocprim17ROCPRIM_400000_NS6detail30init_device_scan_by_key_kernelINS1_19lookback_scan_stateINS0_5tupleIJibEEELb0ELb1EEENS1_16block_id_wrapperIjLb1EEEEEvT_jjPNS9_10value_typeET0_
; %bb.0:
	s_clause 0x1
	s_load_b32 s8, s[0:1], 0x2c
	s_load_b256 s[0:7], s[0:1], 0x0
	s_waitcnt lgkmcnt(0)
	s_and_b32 s8, s8, 0xffff
	s_cmp_eq_u64 s[4:5], 0
	v_mad_u64_u32 v[1:2], null, s15, s8, v[0:1]
	s_cbranch_scc1 .LBB35_8
; %bb.1:
	s_cmp_lt_u32 s3, s2
	s_mov_b32 s9, 0
	s_cselect_b32 s8, s3, 0
	s_mov_b32 s10, exec_lo
	s_delay_alu instid0(VALU_DEP_1)
	v_cmpx_eq_u32_e64 s8, v1
	s_cbranch_execz .LBB35_7
; %bb.2:
	s_add_i32 s8, s3, 32
	s_mov_b32 s3, exec_lo
	s_lshl_b64 s[8:9], s[8:9], 4
	v_mov_b32_e32 v6, 0
	s_add_u32 s8, s0, s8
	s_addc_u32 s9, s1, s9
	s_delay_alu instid0(SALU_CYCLE_1) | instskip(SKIP_2) | instid1(VALU_DEP_1)
	v_dual_mov_b32 v2, s8 :: v_dual_mov_b32 v3, s9
	;;#ASMSTART
	global_load_dwordx4 v[2:5], v[2:3] off glc	
s_waitcnt vmcnt(0)
	;;#ASMEND
	v_and_b32_e32 v5, 0xff, v4
	v_cmpx_eq_u64_e32 0, v[5:6]
	s_cbranch_execz .LBB35_6
; %bb.3:
	v_dual_mov_b32 v7, s8 :: v_dual_mov_b32 v8, s9
	s_mov_b32 s8, 0
.LBB35_4:                               ; =>This Inner Loop Header: Depth=1
	;;#ASMSTART
	global_load_dwordx4 v[2:5], v[7:8] off glc	
s_waitcnt vmcnt(0)
	;;#ASMEND
	v_and_b32_e32 v5, 0xff, v4
	s_delay_alu instid0(VALU_DEP_1) | instskip(SKIP_1) | instid1(SALU_CYCLE_1)
	v_cmp_ne_u64_e32 vcc_lo, 0, v[5:6]
	s_or_b32 s8, vcc_lo, s8
	s_and_not1_b32 exec_lo, exec_lo, s8
	s_cbranch_execnz .LBB35_4
; %bb.5:
	s_or_b32 exec_lo, exec_lo, s8
.LBB35_6:
	s_delay_alu instid0(SALU_CYCLE_1)
	s_or_b32 exec_lo, exec_lo, s3
	v_mov_b32_e32 v0, 0
	s_clause 0x1
	global_store_b32 v0, v2, s[4:5]
	global_store_b8 v0, v3, s[4:5] offset:4
.LBB35_7:
	s_or_b32 exec_lo, exec_lo, s10
.LBB35_8:
	s_delay_alu instid0(SALU_CYCLE_1) | instskip(NEXT) | instid1(VALU_DEP_1)
	s_mov_b32 s3, exec_lo
	v_cmpx_eq_u32_e32 0, v1
	s_cbranch_execz .LBB35_10
; %bb.9:
	v_mov_b32_e32 v0, 0
	global_store_b32 v0, v0, s[6:7]
.LBB35_10:
	s_or_b32 exec_lo, exec_lo, s3
	v_cmp_gt_u32_e32 vcc_lo, s2, v1
	s_and_saveexec_b32 s2, vcc_lo
	s_cbranch_execz .LBB35_12
; %bb.11:
	v_dual_mov_b32 v3, 0 :: v_dual_add_nc_u32 v2, 32, v1
	s_delay_alu instid0(VALU_DEP_1) | instskip(SKIP_2) | instid1(VALU_DEP_3)
	v_lshlrev_b64 v[5:6], 4, v[2:3]
	v_mov_b32_e32 v2, v3
	v_mov_b32_e32 v4, v3
	v_add_co_u32 v7, vcc_lo, s0, v5
	s_delay_alu instid0(VALU_DEP_4)
	v_add_co_ci_u32_e32 v8, vcc_lo, s1, v6, vcc_lo
	v_mov_b32_e32 v5, v3
	global_store_b128 v[7:8], v[2:5], off
.LBB35_12:
	s_or_b32 exec_lo, exec_lo, s2
	s_delay_alu instid0(SALU_CYCLE_1)
	s_mov_b32 s2, exec_lo
	v_cmpx_gt_u32_e32 32, v1
	s_cbranch_execz .LBB35_14
; %bb.13:
	v_dual_mov_b32 v2, 0 :: v_dual_mov_b32 v3, 0xff
	s_delay_alu instid0(VALU_DEP_1) | instskip(SKIP_1) | instid1(VALU_DEP_2)
	v_lshlrev_b64 v[4:5], 4, v[1:2]
	v_mov_b32_e32 v1, v2
	v_add_co_u32 v6, vcc_lo, s0, v4
	s_delay_alu instid0(VALU_DEP_3)
	v_add_co_ci_u32_e32 v7, vcc_lo, s1, v5, vcc_lo
	v_mov_b32_e32 v4, v2
	global_store_b128 v[6:7], v[1:4], off
.LBB35_14:
	s_nop 0
	s_sendmsg sendmsg(MSG_DEALLOC_VGPRS)
	s_endpgm
	.section	.rodata,"a",@progbits
	.p2align	6, 0x0
	.amdhsa_kernel _ZN7rocprim17ROCPRIM_400000_NS6detail30init_device_scan_by_key_kernelINS1_19lookback_scan_stateINS0_5tupleIJibEEELb0ELb1EEENS1_16block_id_wrapperIjLb1EEEEEvT_jjPNS9_10value_typeET0_
		.amdhsa_group_segment_fixed_size 0
		.amdhsa_private_segment_fixed_size 0
		.amdhsa_kernarg_size 288
		.amdhsa_user_sgpr_count 15
		.amdhsa_user_sgpr_dispatch_ptr 0
		.amdhsa_user_sgpr_queue_ptr 0
		.amdhsa_user_sgpr_kernarg_segment_ptr 1
		.amdhsa_user_sgpr_dispatch_id 0
		.amdhsa_user_sgpr_private_segment_size 0
		.amdhsa_wavefront_size32 1
		.amdhsa_uses_dynamic_stack 0
		.amdhsa_enable_private_segment 0
		.amdhsa_system_sgpr_workgroup_id_x 1
		.amdhsa_system_sgpr_workgroup_id_y 0
		.amdhsa_system_sgpr_workgroup_id_z 0
		.amdhsa_system_sgpr_workgroup_info 0
		.amdhsa_system_vgpr_workitem_id 0
		.amdhsa_next_free_vgpr 9
		.amdhsa_next_free_sgpr 16
		.amdhsa_reserve_vcc 1
		.amdhsa_float_round_mode_32 0
		.amdhsa_float_round_mode_16_64 0
		.amdhsa_float_denorm_mode_32 3
		.amdhsa_float_denorm_mode_16_64 3
		.amdhsa_dx10_clamp 1
		.amdhsa_ieee_mode 1
		.amdhsa_fp16_overflow 0
		.amdhsa_workgroup_processor_mode 1
		.amdhsa_memory_ordered 1
		.amdhsa_forward_progress 0
		.amdhsa_shared_vgpr_count 0
		.amdhsa_exception_fp_ieee_invalid_op 0
		.amdhsa_exception_fp_denorm_src 0
		.amdhsa_exception_fp_ieee_div_zero 0
		.amdhsa_exception_fp_ieee_overflow 0
		.amdhsa_exception_fp_ieee_underflow 0
		.amdhsa_exception_fp_ieee_inexact 0
		.amdhsa_exception_int_div_zero 0
	.end_amdhsa_kernel
	.section	.text._ZN7rocprim17ROCPRIM_400000_NS6detail30init_device_scan_by_key_kernelINS1_19lookback_scan_stateINS0_5tupleIJibEEELb0ELb1EEENS1_16block_id_wrapperIjLb1EEEEEvT_jjPNS9_10value_typeET0_,"axG",@progbits,_ZN7rocprim17ROCPRIM_400000_NS6detail30init_device_scan_by_key_kernelINS1_19lookback_scan_stateINS0_5tupleIJibEEELb0ELb1EEENS1_16block_id_wrapperIjLb1EEEEEvT_jjPNS9_10value_typeET0_,comdat
.Lfunc_end35:
	.size	_ZN7rocprim17ROCPRIM_400000_NS6detail30init_device_scan_by_key_kernelINS1_19lookback_scan_stateINS0_5tupleIJibEEELb0ELb1EEENS1_16block_id_wrapperIjLb1EEEEEvT_jjPNS9_10value_typeET0_, .Lfunc_end35-_ZN7rocprim17ROCPRIM_400000_NS6detail30init_device_scan_by_key_kernelINS1_19lookback_scan_stateINS0_5tupleIJibEEELb0ELb1EEENS1_16block_id_wrapperIjLb1EEEEEvT_jjPNS9_10value_typeET0_
                                        ; -- End function
	.section	.AMDGPU.csdata,"",@progbits
; Kernel info:
; codeLenInByte = 480
; NumSgprs: 18
; NumVgprs: 9
; ScratchSize: 0
; MemoryBound: 0
; FloatMode: 240
; IeeeMode: 1
; LDSByteSize: 0 bytes/workgroup (compile time only)
; SGPRBlocks: 2
; VGPRBlocks: 1
; NumSGPRsForWavesPerEU: 18
; NumVGPRsForWavesPerEU: 9
; Occupancy: 16
; WaveLimiterHint : 0
; COMPUTE_PGM_RSRC2:SCRATCH_EN: 0
; COMPUTE_PGM_RSRC2:USER_SGPR: 15
; COMPUTE_PGM_RSRC2:TRAP_HANDLER: 0
; COMPUTE_PGM_RSRC2:TGID_X_EN: 1
; COMPUTE_PGM_RSRC2:TGID_Y_EN: 0
; COMPUTE_PGM_RSRC2:TGID_Z_EN: 0
; COMPUTE_PGM_RSRC2:TIDIG_COMP_CNT: 0
	.section	.text._ZN7rocprim17ROCPRIM_400000_NS6detail17trampoline_kernelINS0_14default_configENS1_27scan_by_key_config_selectorImiEEZZNS1_16scan_by_key_implILNS1_25lookback_scan_determinismE0ELb0ES3_N6thrust23THRUST_200600_302600_NS18transform_iteratorI9row_indexNS9_17counting_iteratorImNS9_11use_defaultESD_SD_EESD_SD_EENS9_6detail15normal_iteratorINS9_10device_ptrIiEEEESK_iNS9_4plusIvEENS9_8equal_toIvEEiEE10hipError_tPvRmT2_T3_T4_T5_mT6_T7_P12ihipStream_tbENKUlT_T0_E_clISt17integral_constantIbLb0EES14_IbLb1EEEEDaS10_S11_EUlS10_E_NS1_11comp_targetILNS1_3genE0ELNS1_11target_archE4294967295ELNS1_3gpuE0ELNS1_3repE0EEENS1_30default_config_static_selectorELNS0_4arch9wavefront6targetE0EEEvT1_,"axG",@progbits,_ZN7rocprim17ROCPRIM_400000_NS6detail17trampoline_kernelINS0_14default_configENS1_27scan_by_key_config_selectorImiEEZZNS1_16scan_by_key_implILNS1_25lookback_scan_determinismE0ELb0ES3_N6thrust23THRUST_200600_302600_NS18transform_iteratorI9row_indexNS9_17counting_iteratorImNS9_11use_defaultESD_SD_EESD_SD_EENS9_6detail15normal_iteratorINS9_10device_ptrIiEEEESK_iNS9_4plusIvEENS9_8equal_toIvEEiEE10hipError_tPvRmT2_T3_T4_T5_mT6_T7_P12ihipStream_tbENKUlT_T0_E_clISt17integral_constantIbLb0EES14_IbLb1EEEEDaS10_S11_EUlS10_E_NS1_11comp_targetILNS1_3genE0ELNS1_11target_archE4294967295ELNS1_3gpuE0ELNS1_3repE0EEENS1_30default_config_static_selectorELNS0_4arch9wavefront6targetE0EEEvT1_,comdat
	.protected	_ZN7rocprim17ROCPRIM_400000_NS6detail17trampoline_kernelINS0_14default_configENS1_27scan_by_key_config_selectorImiEEZZNS1_16scan_by_key_implILNS1_25lookback_scan_determinismE0ELb0ES3_N6thrust23THRUST_200600_302600_NS18transform_iteratorI9row_indexNS9_17counting_iteratorImNS9_11use_defaultESD_SD_EESD_SD_EENS9_6detail15normal_iteratorINS9_10device_ptrIiEEEESK_iNS9_4plusIvEENS9_8equal_toIvEEiEE10hipError_tPvRmT2_T3_T4_T5_mT6_T7_P12ihipStream_tbENKUlT_T0_E_clISt17integral_constantIbLb0EES14_IbLb1EEEEDaS10_S11_EUlS10_E_NS1_11comp_targetILNS1_3genE0ELNS1_11target_archE4294967295ELNS1_3gpuE0ELNS1_3repE0EEENS1_30default_config_static_selectorELNS0_4arch9wavefront6targetE0EEEvT1_ ; -- Begin function _ZN7rocprim17ROCPRIM_400000_NS6detail17trampoline_kernelINS0_14default_configENS1_27scan_by_key_config_selectorImiEEZZNS1_16scan_by_key_implILNS1_25lookback_scan_determinismE0ELb0ES3_N6thrust23THRUST_200600_302600_NS18transform_iteratorI9row_indexNS9_17counting_iteratorImNS9_11use_defaultESD_SD_EESD_SD_EENS9_6detail15normal_iteratorINS9_10device_ptrIiEEEESK_iNS9_4plusIvEENS9_8equal_toIvEEiEE10hipError_tPvRmT2_T3_T4_T5_mT6_T7_P12ihipStream_tbENKUlT_T0_E_clISt17integral_constantIbLb0EES14_IbLb1EEEEDaS10_S11_EUlS10_E_NS1_11comp_targetILNS1_3genE0ELNS1_11target_archE4294967295ELNS1_3gpuE0ELNS1_3repE0EEENS1_30default_config_static_selectorELNS0_4arch9wavefront6targetE0EEEvT1_
	.globl	_ZN7rocprim17ROCPRIM_400000_NS6detail17trampoline_kernelINS0_14default_configENS1_27scan_by_key_config_selectorImiEEZZNS1_16scan_by_key_implILNS1_25lookback_scan_determinismE0ELb0ES3_N6thrust23THRUST_200600_302600_NS18transform_iteratorI9row_indexNS9_17counting_iteratorImNS9_11use_defaultESD_SD_EESD_SD_EENS9_6detail15normal_iteratorINS9_10device_ptrIiEEEESK_iNS9_4plusIvEENS9_8equal_toIvEEiEE10hipError_tPvRmT2_T3_T4_T5_mT6_T7_P12ihipStream_tbENKUlT_T0_E_clISt17integral_constantIbLb0EES14_IbLb1EEEEDaS10_S11_EUlS10_E_NS1_11comp_targetILNS1_3genE0ELNS1_11target_archE4294967295ELNS1_3gpuE0ELNS1_3repE0EEENS1_30default_config_static_selectorELNS0_4arch9wavefront6targetE0EEEvT1_
	.p2align	8
	.type	_ZN7rocprim17ROCPRIM_400000_NS6detail17trampoline_kernelINS0_14default_configENS1_27scan_by_key_config_selectorImiEEZZNS1_16scan_by_key_implILNS1_25lookback_scan_determinismE0ELb0ES3_N6thrust23THRUST_200600_302600_NS18transform_iteratorI9row_indexNS9_17counting_iteratorImNS9_11use_defaultESD_SD_EESD_SD_EENS9_6detail15normal_iteratorINS9_10device_ptrIiEEEESK_iNS9_4plusIvEENS9_8equal_toIvEEiEE10hipError_tPvRmT2_T3_T4_T5_mT6_T7_P12ihipStream_tbENKUlT_T0_E_clISt17integral_constantIbLb0EES14_IbLb1EEEEDaS10_S11_EUlS10_E_NS1_11comp_targetILNS1_3genE0ELNS1_11target_archE4294967295ELNS1_3gpuE0ELNS1_3repE0EEENS1_30default_config_static_selectorELNS0_4arch9wavefront6targetE0EEEvT1_,@function
_ZN7rocprim17ROCPRIM_400000_NS6detail17trampoline_kernelINS0_14default_configENS1_27scan_by_key_config_selectorImiEEZZNS1_16scan_by_key_implILNS1_25lookback_scan_determinismE0ELb0ES3_N6thrust23THRUST_200600_302600_NS18transform_iteratorI9row_indexNS9_17counting_iteratorImNS9_11use_defaultESD_SD_EESD_SD_EENS9_6detail15normal_iteratorINS9_10device_ptrIiEEEESK_iNS9_4plusIvEENS9_8equal_toIvEEiEE10hipError_tPvRmT2_T3_T4_T5_mT6_T7_P12ihipStream_tbENKUlT_T0_E_clISt17integral_constantIbLb0EES14_IbLb1EEEEDaS10_S11_EUlS10_E_NS1_11comp_targetILNS1_3genE0ELNS1_11target_archE4294967295ELNS1_3gpuE0ELNS1_3repE0EEENS1_30default_config_static_selectorELNS0_4arch9wavefront6targetE0EEEvT1_: ; @_ZN7rocprim17ROCPRIM_400000_NS6detail17trampoline_kernelINS0_14default_configENS1_27scan_by_key_config_selectorImiEEZZNS1_16scan_by_key_implILNS1_25lookback_scan_determinismE0ELb0ES3_N6thrust23THRUST_200600_302600_NS18transform_iteratorI9row_indexNS9_17counting_iteratorImNS9_11use_defaultESD_SD_EESD_SD_EENS9_6detail15normal_iteratorINS9_10device_ptrIiEEEESK_iNS9_4plusIvEENS9_8equal_toIvEEiEE10hipError_tPvRmT2_T3_T4_T5_mT6_T7_P12ihipStream_tbENKUlT_T0_E_clISt17integral_constantIbLb0EES14_IbLb1EEEEDaS10_S11_EUlS10_E_NS1_11comp_targetILNS1_3genE0ELNS1_11target_archE4294967295ELNS1_3gpuE0ELNS1_3repE0EEENS1_30default_config_static_selectorELNS0_4arch9wavefront6targetE0EEEvT1_
; %bb.0:
	.section	.rodata,"a",@progbits
	.p2align	6, 0x0
	.amdhsa_kernel _ZN7rocprim17ROCPRIM_400000_NS6detail17trampoline_kernelINS0_14default_configENS1_27scan_by_key_config_selectorImiEEZZNS1_16scan_by_key_implILNS1_25lookback_scan_determinismE0ELb0ES3_N6thrust23THRUST_200600_302600_NS18transform_iteratorI9row_indexNS9_17counting_iteratorImNS9_11use_defaultESD_SD_EESD_SD_EENS9_6detail15normal_iteratorINS9_10device_ptrIiEEEESK_iNS9_4plusIvEENS9_8equal_toIvEEiEE10hipError_tPvRmT2_T3_T4_T5_mT6_T7_P12ihipStream_tbENKUlT_T0_E_clISt17integral_constantIbLb0EES14_IbLb1EEEEDaS10_S11_EUlS10_E_NS1_11comp_targetILNS1_3genE0ELNS1_11target_archE4294967295ELNS1_3gpuE0ELNS1_3repE0EEENS1_30default_config_static_selectorELNS0_4arch9wavefront6targetE0EEEvT1_
		.amdhsa_group_segment_fixed_size 0
		.amdhsa_private_segment_fixed_size 0
		.amdhsa_kernarg_size 120
		.amdhsa_user_sgpr_count 15
		.amdhsa_user_sgpr_dispatch_ptr 0
		.amdhsa_user_sgpr_queue_ptr 0
		.amdhsa_user_sgpr_kernarg_segment_ptr 1
		.amdhsa_user_sgpr_dispatch_id 0
		.amdhsa_user_sgpr_private_segment_size 0
		.amdhsa_wavefront_size32 1
		.amdhsa_uses_dynamic_stack 0
		.amdhsa_enable_private_segment 0
		.amdhsa_system_sgpr_workgroup_id_x 1
		.amdhsa_system_sgpr_workgroup_id_y 0
		.amdhsa_system_sgpr_workgroup_id_z 0
		.amdhsa_system_sgpr_workgroup_info 0
		.amdhsa_system_vgpr_workitem_id 0
		.amdhsa_next_free_vgpr 1
		.amdhsa_next_free_sgpr 1
		.amdhsa_reserve_vcc 0
		.amdhsa_float_round_mode_32 0
		.amdhsa_float_round_mode_16_64 0
		.amdhsa_float_denorm_mode_32 3
		.amdhsa_float_denorm_mode_16_64 3
		.amdhsa_dx10_clamp 1
		.amdhsa_ieee_mode 1
		.amdhsa_fp16_overflow 0
		.amdhsa_workgroup_processor_mode 1
		.amdhsa_memory_ordered 1
		.amdhsa_forward_progress 0
		.amdhsa_shared_vgpr_count 0
		.amdhsa_exception_fp_ieee_invalid_op 0
		.amdhsa_exception_fp_denorm_src 0
		.amdhsa_exception_fp_ieee_div_zero 0
		.amdhsa_exception_fp_ieee_overflow 0
		.amdhsa_exception_fp_ieee_underflow 0
		.amdhsa_exception_fp_ieee_inexact 0
		.amdhsa_exception_int_div_zero 0
	.end_amdhsa_kernel
	.section	.text._ZN7rocprim17ROCPRIM_400000_NS6detail17trampoline_kernelINS0_14default_configENS1_27scan_by_key_config_selectorImiEEZZNS1_16scan_by_key_implILNS1_25lookback_scan_determinismE0ELb0ES3_N6thrust23THRUST_200600_302600_NS18transform_iteratorI9row_indexNS9_17counting_iteratorImNS9_11use_defaultESD_SD_EESD_SD_EENS9_6detail15normal_iteratorINS9_10device_ptrIiEEEESK_iNS9_4plusIvEENS9_8equal_toIvEEiEE10hipError_tPvRmT2_T3_T4_T5_mT6_T7_P12ihipStream_tbENKUlT_T0_E_clISt17integral_constantIbLb0EES14_IbLb1EEEEDaS10_S11_EUlS10_E_NS1_11comp_targetILNS1_3genE0ELNS1_11target_archE4294967295ELNS1_3gpuE0ELNS1_3repE0EEENS1_30default_config_static_selectorELNS0_4arch9wavefront6targetE0EEEvT1_,"axG",@progbits,_ZN7rocprim17ROCPRIM_400000_NS6detail17trampoline_kernelINS0_14default_configENS1_27scan_by_key_config_selectorImiEEZZNS1_16scan_by_key_implILNS1_25lookback_scan_determinismE0ELb0ES3_N6thrust23THRUST_200600_302600_NS18transform_iteratorI9row_indexNS9_17counting_iteratorImNS9_11use_defaultESD_SD_EESD_SD_EENS9_6detail15normal_iteratorINS9_10device_ptrIiEEEESK_iNS9_4plusIvEENS9_8equal_toIvEEiEE10hipError_tPvRmT2_T3_T4_T5_mT6_T7_P12ihipStream_tbENKUlT_T0_E_clISt17integral_constantIbLb0EES14_IbLb1EEEEDaS10_S11_EUlS10_E_NS1_11comp_targetILNS1_3genE0ELNS1_11target_archE4294967295ELNS1_3gpuE0ELNS1_3repE0EEENS1_30default_config_static_selectorELNS0_4arch9wavefront6targetE0EEEvT1_,comdat
.Lfunc_end36:
	.size	_ZN7rocprim17ROCPRIM_400000_NS6detail17trampoline_kernelINS0_14default_configENS1_27scan_by_key_config_selectorImiEEZZNS1_16scan_by_key_implILNS1_25lookback_scan_determinismE0ELb0ES3_N6thrust23THRUST_200600_302600_NS18transform_iteratorI9row_indexNS9_17counting_iteratorImNS9_11use_defaultESD_SD_EESD_SD_EENS9_6detail15normal_iteratorINS9_10device_ptrIiEEEESK_iNS9_4plusIvEENS9_8equal_toIvEEiEE10hipError_tPvRmT2_T3_T4_T5_mT6_T7_P12ihipStream_tbENKUlT_T0_E_clISt17integral_constantIbLb0EES14_IbLb1EEEEDaS10_S11_EUlS10_E_NS1_11comp_targetILNS1_3genE0ELNS1_11target_archE4294967295ELNS1_3gpuE0ELNS1_3repE0EEENS1_30default_config_static_selectorELNS0_4arch9wavefront6targetE0EEEvT1_, .Lfunc_end36-_ZN7rocprim17ROCPRIM_400000_NS6detail17trampoline_kernelINS0_14default_configENS1_27scan_by_key_config_selectorImiEEZZNS1_16scan_by_key_implILNS1_25lookback_scan_determinismE0ELb0ES3_N6thrust23THRUST_200600_302600_NS18transform_iteratorI9row_indexNS9_17counting_iteratorImNS9_11use_defaultESD_SD_EESD_SD_EENS9_6detail15normal_iteratorINS9_10device_ptrIiEEEESK_iNS9_4plusIvEENS9_8equal_toIvEEiEE10hipError_tPvRmT2_T3_T4_T5_mT6_T7_P12ihipStream_tbENKUlT_T0_E_clISt17integral_constantIbLb0EES14_IbLb1EEEEDaS10_S11_EUlS10_E_NS1_11comp_targetILNS1_3genE0ELNS1_11target_archE4294967295ELNS1_3gpuE0ELNS1_3repE0EEENS1_30default_config_static_selectorELNS0_4arch9wavefront6targetE0EEEvT1_
                                        ; -- End function
	.section	.AMDGPU.csdata,"",@progbits
; Kernel info:
; codeLenInByte = 0
; NumSgprs: 0
; NumVgprs: 0
; ScratchSize: 0
; MemoryBound: 0
; FloatMode: 240
; IeeeMode: 1
; LDSByteSize: 0 bytes/workgroup (compile time only)
; SGPRBlocks: 0
; VGPRBlocks: 0
; NumSGPRsForWavesPerEU: 1
; NumVGPRsForWavesPerEU: 1
; Occupancy: 16
; WaveLimiterHint : 0
; COMPUTE_PGM_RSRC2:SCRATCH_EN: 0
; COMPUTE_PGM_RSRC2:USER_SGPR: 15
; COMPUTE_PGM_RSRC2:TRAP_HANDLER: 0
; COMPUTE_PGM_RSRC2:TGID_X_EN: 1
; COMPUTE_PGM_RSRC2:TGID_Y_EN: 0
; COMPUTE_PGM_RSRC2:TGID_Z_EN: 0
; COMPUTE_PGM_RSRC2:TIDIG_COMP_CNT: 0
	.section	.text._ZN7rocprim17ROCPRIM_400000_NS6detail17trampoline_kernelINS0_14default_configENS1_27scan_by_key_config_selectorImiEEZZNS1_16scan_by_key_implILNS1_25lookback_scan_determinismE0ELb0ES3_N6thrust23THRUST_200600_302600_NS18transform_iteratorI9row_indexNS9_17counting_iteratorImNS9_11use_defaultESD_SD_EESD_SD_EENS9_6detail15normal_iteratorINS9_10device_ptrIiEEEESK_iNS9_4plusIvEENS9_8equal_toIvEEiEE10hipError_tPvRmT2_T3_T4_T5_mT6_T7_P12ihipStream_tbENKUlT_T0_E_clISt17integral_constantIbLb0EES14_IbLb1EEEEDaS10_S11_EUlS10_E_NS1_11comp_targetILNS1_3genE10ELNS1_11target_archE1201ELNS1_3gpuE5ELNS1_3repE0EEENS1_30default_config_static_selectorELNS0_4arch9wavefront6targetE0EEEvT1_,"axG",@progbits,_ZN7rocprim17ROCPRIM_400000_NS6detail17trampoline_kernelINS0_14default_configENS1_27scan_by_key_config_selectorImiEEZZNS1_16scan_by_key_implILNS1_25lookback_scan_determinismE0ELb0ES3_N6thrust23THRUST_200600_302600_NS18transform_iteratorI9row_indexNS9_17counting_iteratorImNS9_11use_defaultESD_SD_EESD_SD_EENS9_6detail15normal_iteratorINS9_10device_ptrIiEEEESK_iNS9_4plusIvEENS9_8equal_toIvEEiEE10hipError_tPvRmT2_T3_T4_T5_mT6_T7_P12ihipStream_tbENKUlT_T0_E_clISt17integral_constantIbLb0EES14_IbLb1EEEEDaS10_S11_EUlS10_E_NS1_11comp_targetILNS1_3genE10ELNS1_11target_archE1201ELNS1_3gpuE5ELNS1_3repE0EEENS1_30default_config_static_selectorELNS0_4arch9wavefront6targetE0EEEvT1_,comdat
	.protected	_ZN7rocprim17ROCPRIM_400000_NS6detail17trampoline_kernelINS0_14default_configENS1_27scan_by_key_config_selectorImiEEZZNS1_16scan_by_key_implILNS1_25lookback_scan_determinismE0ELb0ES3_N6thrust23THRUST_200600_302600_NS18transform_iteratorI9row_indexNS9_17counting_iteratorImNS9_11use_defaultESD_SD_EESD_SD_EENS9_6detail15normal_iteratorINS9_10device_ptrIiEEEESK_iNS9_4plusIvEENS9_8equal_toIvEEiEE10hipError_tPvRmT2_T3_T4_T5_mT6_T7_P12ihipStream_tbENKUlT_T0_E_clISt17integral_constantIbLb0EES14_IbLb1EEEEDaS10_S11_EUlS10_E_NS1_11comp_targetILNS1_3genE10ELNS1_11target_archE1201ELNS1_3gpuE5ELNS1_3repE0EEENS1_30default_config_static_selectorELNS0_4arch9wavefront6targetE0EEEvT1_ ; -- Begin function _ZN7rocprim17ROCPRIM_400000_NS6detail17trampoline_kernelINS0_14default_configENS1_27scan_by_key_config_selectorImiEEZZNS1_16scan_by_key_implILNS1_25lookback_scan_determinismE0ELb0ES3_N6thrust23THRUST_200600_302600_NS18transform_iteratorI9row_indexNS9_17counting_iteratorImNS9_11use_defaultESD_SD_EESD_SD_EENS9_6detail15normal_iteratorINS9_10device_ptrIiEEEESK_iNS9_4plusIvEENS9_8equal_toIvEEiEE10hipError_tPvRmT2_T3_T4_T5_mT6_T7_P12ihipStream_tbENKUlT_T0_E_clISt17integral_constantIbLb0EES14_IbLb1EEEEDaS10_S11_EUlS10_E_NS1_11comp_targetILNS1_3genE10ELNS1_11target_archE1201ELNS1_3gpuE5ELNS1_3repE0EEENS1_30default_config_static_selectorELNS0_4arch9wavefront6targetE0EEEvT1_
	.globl	_ZN7rocprim17ROCPRIM_400000_NS6detail17trampoline_kernelINS0_14default_configENS1_27scan_by_key_config_selectorImiEEZZNS1_16scan_by_key_implILNS1_25lookback_scan_determinismE0ELb0ES3_N6thrust23THRUST_200600_302600_NS18transform_iteratorI9row_indexNS9_17counting_iteratorImNS9_11use_defaultESD_SD_EESD_SD_EENS9_6detail15normal_iteratorINS9_10device_ptrIiEEEESK_iNS9_4plusIvEENS9_8equal_toIvEEiEE10hipError_tPvRmT2_T3_T4_T5_mT6_T7_P12ihipStream_tbENKUlT_T0_E_clISt17integral_constantIbLb0EES14_IbLb1EEEEDaS10_S11_EUlS10_E_NS1_11comp_targetILNS1_3genE10ELNS1_11target_archE1201ELNS1_3gpuE5ELNS1_3repE0EEENS1_30default_config_static_selectorELNS0_4arch9wavefront6targetE0EEEvT1_
	.p2align	8
	.type	_ZN7rocprim17ROCPRIM_400000_NS6detail17trampoline_kernelINS0_14default_configENS1_27scan_by_key_config_selectorImiEEZZNS1_16scan_by_key_implILNS1_25lookback_scan_determinismE0ELb0ES3_N6thrust23THRUST_200600_302600_NS18transform_iteratorI9row_indexNS9_17counting_iteratorImNS9_11use_defaultESD_SD_EESD_SD_EENS9_6detail15normal_iteratorINS9_10device_ptrIiEEEESK_iNS9_4plusIvEENS9_8equal_toIvEEiEE10hipError_tPvRmT2_T3_T4_T5_mT6_T7_P12ihipStream_tbENKUlT_T0_E_clISt17integral_constantIbLb0EES14_IbLb1EEEEDaS10_S11_EUlS10_E_NS1_11comp_targetILNS1_3genE10ELNS1_11target_archE1201ELNS1_3gpuE5ELNS1_3repE0EEENS1_30default_config_static_selectorELNS0_4arch9wavefront6targetE0EEEvT1_,@function
_ZN7rocprim17ROCPRIM_400000_NS6detail17trampoline_kernelINS0_14default_configENS1_27scan_by_key_config_selectorImiEEZZNS1_16scan_by_key_implILNS1_25lookback_scan_determinismE0ELb0ES3_N6thrust23THRUST_200600_302600_NS18transform_iteratorI9row_indexNS9_17counting_iteratorImNS9_11use_defaultESD_SD_EESD_SD_EENS9_6detail15normal_iteratorINS9_10device_ptrIiEEEESK_iNS9_4plusIvEENS9_8equal_toIvEEiEE10hipError_tPvRmT2_T3_T4_T5_mT6_T7_P12ihipStream_tbENKUlT_T0_E_clISt17integral_constantIbLb0EES14_IbLb1EEEEDaS10_S11_EUlS10_E_NS1_11comp_targetILNS1_3genE10ELNS1_11target_archE1201ELNS1_3gpuE5ELNS1_3repE0EEENS1_30default_config_static_selectorELNS0_4arch9wavefront6targetE0EEEvT1_: ; @_ZN7rocprim17ROCPRIM_400000_NS6detail17trampoline_kernelINS0_14default_configENS1_27scan_by_key_config_selectorImiEEZZNS1_16scan_by_key_implILNS1_25lookback_scan_determinismE0ELb0ES3_N6thrust23THRUST_200600_302600_NS18transform_iteratorI9row_indexNS9_17counting_iteratorImNS9_11use_defaultESD_SD_EESD_SD_EENS9_6detail15normal_iteratorINS9_10device_ptrIiEEEESK_iNS9_4plusIvEENS9_8equal_toIvEEiEE10hipError_tPvRmT2_T3_T4_T5_mT6_T7_P12ihipStream_tbENKUlT_T0_E_clISt17integral_constantIbLb0EES14_IbLb1EEEEDaS10_S11_EUlS10_E_NS1_11comp_targetILNS1_3genE10ELNS1_11target_archE1201ELNS1_3gpuE5ELNS1_3repE0EEENS1_30default_config_static_selectorELNS0_4arch9wavefront6targetE0EEEvT1_
; %bb.0:
	.section	.rodata,"a",@progbits
	.p2align	6, 0x0
	.amdhsa_kernel _ZN7rocprim17ROCPRIM_400000_NS6detail17trampoline_kernelINS0_14default_configENS1_27scan_by_key_config_selectorImiEEZZNS1_16scan_by_key_implILNS1_25lookback_scan_determinismE0ELb0ES3_N6thrust23THRUST_200600_302600_NS18transform_iteratorI9row_indexNS9_17counting_iteratorImNS9_11use_defaultESD_SD_EESD_SD_EENS9_6detail15normal_iteratorINS9_10device_ptrIiEEEESK_iNS9_4plusIvEENS9_8equal_toIvEEiEE10hipError_tPvRmT2_T3_T4_T5_mT6_T7_P12ihipStream_tbENKUlT_T0_E_clISt17integral_constantIbLb0EES14_IbLb1EEEEDaS10_S11_EUlS10_E_NS1_11comp_targetILNS1_3genE10ELNS1_11target_archE1201ELNS1_3gpuE5ELNS1_3repE0EEENS1_30default_config_static_selectorELNS0_4arch9wavefront6targetE0EEEvT1_
		.amdhsa_group_segment_fixed_size 0
		.amdhsa_private_segment_fixed_size 0
		.amdhsa_kernarg_size 120
		.amdhsa_user_sgpr_count 15
		.amdhsa_user_sgpr_dispatch_ptr 0
		.amdhsa_user_sgpr_queue_ptr 0
		.amdhsa_user_sgpr_kernarg_segment_ptr 1
		.amdhsa_user_sgpr_dispatch_id 0
		.amdhsa_user_sgpr_private_segment_size 0
		.amdhsa_wavefront_size32 1
		.amdhsa_uses_dynamic_stack 0
		.amdhsa_enable_private_segment 0
		.amdhsa_system_sgpr_workgroup_id_x 1
		.amdhsa_system_sgpr_workgroup_id_y 0
		.amdhsa_system_sgpr_workgroup_id_z 0
		.amdhsa_system_sgpr_workgroup_info 0
		.amdhsa_system_vgpr_workitem_id 0
		.amdhsa_next_free_vgpr 1
		.amdhsa_next_free_sgpr 1
		.amdhsa_reserve_vcc 0
		.amdhsa_float_round_mode_32 0
		.amdhsa_float_round_mode_16_64 0
		.amdhsa_float_denorm_mode_32 3
		.amdhsa_float_denorm_mode_16_64 3
		.amdhsa_dx10_clamp 1
		.amdhsa_ieee_mode 1
		.amdhsa_fp16_overflow 0
		.amdhsa_workgroup_processor_mode 1
		.amdhsa_memory_ordered 1
		.amdhsa_forward_progress 0
		.amdhsa_shared_vgpr_count 0
		.amdhsa_exception_fp_ieee_invalid_op 0
		.amdhsa_exception_fp_denorm_src 0
		.amdhsa_exception_fp_ieee_div_zero 0
		.amdhsa_exception_fp_ieee_overflow 0
		.amdhsa_exception_fp_ieee_underflow 0
		.amdhsa_exception_fp_ieee_inexact 0
		.amdhsa_exception_int_div_zero 0
	.end_amdhsa_kernel
	.section	.text._ZN7rocprim17ROCPRIM_400000_NS6detail17trampoline_kernelINS0_14default_configENS1_27scan_by_key_config_selectorImiEEZZNS1_16scan_by_key_implILNS1_25lookback_scan_determinismE0ELb0ES3_N6thrust23THRUST_200600_302600_NS18transform_iteratorI9row_indexNS9_17counting_iteratorImNS9_11use_defaultESD_SD_EESD_SD_EENS9_6detail15normal_iteratorINS9_10device_ptrIiEEEESK_iNS9_4plusIvEENS9_8equal_toIvEEiEE10hipError_tPvRmT2_T3_T4_T5_mT6_T7_P12ihipStream_tbENKUlT_T0_E_clISt17integral_constantIbLb0EES14_IbLb1EEEEDaS10_S11_EUlS10_E_NS1_11comp_targetILNS1_3genE10ELNS1_11target_archE1201ELNS1_3gpuE5ELNS1_3repE0EEENS1_30default_config_static_selectorELNS0_4arch9wavefront6targetE0EEEvT1_,"axG",@progbits,_ZN7rocprim17ROCPRIM_400000_NS6detail17trampoline_kernelINS0_14default_configENS1_27scan_by_key_config_selectorImiEEZZNS1_16scan_by_key_implILNS1_25lookback_scan_determinismE0ELb0ES3_N6thrust23THRUST_200600_302600_NS18transform_iteratorI9row_indexNS9_17counting_iteratorImNS9_11use_defaultESD_SD_EESD_SD_EENS9_6detail15normal_iteratorINS9_10device_ptrIiEEEESK_iNS9_4plusIvEENS9_8equal_toIvEEiEE10hipError_tPvRmT2_T3_T4_T5_mT6_T7_P12ihipStream_tbENKUlT_T0_E_clISt17integral_constantIbLb0EES14_IbLb1EEEEDaS10_S11_EUlS10_E_NS1_11comp_targetILNS1_3genE10ELNS1_11target_archE1201ELNS1_3gpuE5ELNS1_3repE0EEENS1_30default_config_static_selectorELNS0_4arch9wavefront6targetE0EEEvT1_,comdat
.Lfunc_end37:
	.size	_ZN7rocprim17ROCPRIM_400000_NS6detail17trampoline_kernelINS0_14default_configENS1_27scan_by_key_config_selectorImiEEZZNS1_16scan_by_key_implILNS1_25lookback_scan_determinismE0ELb0ES3_N6thrust23THRUST_200600_302600_NS18transform_iteratorI9row_indexNS9_17counting_iteratorImNS9_11use_defaultESD_SD_EESD_SD_EENS9_6detail15normal_iteratorINS9_10device_ptrIiEEEESK_iNS9_4plusIvEENS9_8equal_toIvEEiEE10hipError_tPvRmT2_T3_T4_T5_mT6_T7_P12ihipStream_tbENKUlT_T0_E_clISt17integral_constantIbLb0EES14_IbLb1EEEEDaS10_S11_EUlS10_E_NS1_11comp_targetILNS1_3genE10ELNS1_11target_archE1201ELNS1_3gpuE5ELNS1_3repE0EEENS1_30default_config_static_selectorELNS0_4arch9wavefront6targetE0EEEvT1_, .Lfunc_end37-_ZN7rocprim17ROCPRIM_400000_NS6detail17trampoline_kernelINS0_14default_configENS1_27scan_by_key_config_selectorImiEEZZNS1_16scan_by_key_implILNS1_25lookback_scan_determinismE0ELb0ES3_N6thrust23THRUST_200600_302600_NS18transform_iteratorI9row_indexNS9_17counting_iteratorImNS9_11use_defaultESD_SD_EESD_SD_EENS9_6detail15normal_iteratorINS9_10device_ptrIiEEEESK_iNS9_4plusIvEENS9_8equal_toIvEEiEE10hipError_tPvRmT2_T3_T4_T5_mT6_T7_P12ihipStream_tbENKUlT_T0_E_clISt17integral_constantIbLb0EES14_IbLb1EEEEDaS10_S11_EUlS10_E_NS1_11comp_targetILNS1_3genE10ELNS1_11target_archE1201ELNS1_3gpuE5ELNS1_3repE0EEENS1_30default_config_static_selectorELNS0_4arch9wavefront6targetE0EEEvT1_
                                        ; -- End function
	.section	.AMDGPU.csdata,"",@progbits
; Kernel info:
; codeLenInByte = 0
; NumSgprs: 0
; NumVgprs: 0
; ScratchSize: 0
; MemoryBound: 0
; FloatMode: 240
; IeeeMode: 1
; LDSByteSize: 0 bytes/workgroup (compile time only)
; SGPRBlocks: 0
; VGPRBlocks: 0
; NumSGPRsForWavesPerEU: 1
; NumVGPRsForWavesPerEU: 1
; Occupancy: 16
; WaveLimiterHint : 0
; COMPUTE_PGM_RSRC2:SCRATCH_EN: 0
; COMPUTE_PGM_RSRC2:USER_SGPR: 15
; COMPUTE_PGM_RSRC2:TRAP_HANDLER: 0
; COMPUTE_PGM_RSRC2:TGID_X_EN: 1
; COMPUTE_PGM_RSRC2:TGID_Y_EN: 0
; COMPUTE_PGM_RSRC2:TGID_Z_EN: 0
; COMPUTE_PGM_RSRC2:TIDIG_COMP_CNT: 0
	.section	.text._ZN7rocprim17ROCPRIM_400000_NS6detail17trampoline_kernelINS0_14default_configENS1_27scan_by_key_config_selectorImiEEZZNS1_16scan_by_key_implILNS1_25lookback_scan_determinismE0ELb0ES3_N6thrust23THRUST_200600_302600_NS18transform_iteratorI9row_indexNS9_17counting_iteratorImNS9_11use_defaultESD_SD_EESD_SD_EENS9_6detail15normal_iteratorINS9_10device_ptrIiEEEESK_iNS9_4plusIvEENS9_8equal_toIvEEiEE10hipError_tPvRmT2_T3_T4_T5_mT6_T7_P12ihipStream_tbENKUlT_T0_E_clISt17integral_constantIbLb0EES14_IbLb1EEEEDaS10_S11_EUlS10_E_NS1_11comp_targetILNS1_3genE5ELNS1_11target_archE942ELNS1_3gpuE9ELNS1_3repE0EEENS1_30default_config_static_selectorELNS0_4arch9wavefront6targetE0EEEvT1_,"axG",@progbits,_ZN7rocprim17ROCPRIM_400000_NS6detail17trampoline_kernelINS0_14default_configENS1_27scan_by_key_config_selectorImiEEZZNS1_16scan_by_key_implILNS1_25lookback_scan_determinismE0ELb0ES3_N6thrust23THRUST_200600_302600_NS18transform_iteratorI9row_indexNS9_17counting_iteratorImNS9_11use_defaultESD_SD_EESD_SD_EENS9_6detail15normal_iteratorINS9_10device_ptrIiEEEESK_iNS9_4plusIvEENS9_8equal_toIvEEiEE10hipError_tPvRmT2_T3_T4_T5_mT6_T7_P12ihipStream_tbENKUlT_T0_E_clISt17integral_constantIbLb0EES14_IbLb1EEEEDaS10_S11_EUlS10_E_NS1_11comp_targetILNS1_3genE5ELNS1_11target_archE942ELNS1_3gpuE9ELNS1_3repE0EEENS1_30default_config_static_selectorELNS0_4arch9wavefront6targetE0EEEvT1_,comdat
	.protected	_ZN7rocprim17ROCPRIM_400000_NS6detail17trampoline_kernelINS0_14default_configENS1_27scan_by_key_config_selectorImiEEZZNS1_16scan_by_key_implILNS1_25lookback_scan_determinismE0ELb0ES3_N6thrust23THRUST_200600_302600_NS18transform_iteratorI9row_indexNS9_17counting_iteratorImNS9_11use_defaultESD_SD_EESD_SD_EENS9_6detail15normal_iteratorINS9_10device_ptrIiEEEESK_iNS9_4plusIvEENS9_8equal_toIvEEiEE10hipError_tPvRmT2_T3_T4_T5_mT6_T7_P12ihipStream_tbENKUlT_T0_E_clISt17integral_constantIbLb0EES14_IbLb1EEEEDaS10_S11_EUlS10_E_NS1_11comp_targetILNS1_3genE5ELNS1_11target_archE942ELNS1_3gpuE9ELNS1_3repE0EEENS1_30default_config_static_selectorELNS0_4arch9wavefront6targetE0EEEvT1_ ; -- Begin function _ZN7rocprim17ROCPRIM_400000_NS6detail17trampoline_kernelINS0_14default_configENS1_27scan_by_key_config_selectorImiEEZZNS1_16scan_by_key_implILNS1_25lookback_scan_determinismE0ELb0ES3_N6thrust23THRUST_200600_302600_NS18transform_iteratorI9row_indexNS9_17counting_iteratorImNS9_11use_defaultESD_SD_EESD_SD_EENS9_6detail15normal_iteratorINS9_10device_ptrIiEEEESK_iNS9_4plusIvEENS9_8equal_toIvEEiEE10hipError_tPvRmT2_T3_T4_T5_mT6_T7_P12ihipStream_tbENKUlT_T0_E_clISt17integral_constantIbLb0EES14_IbLb1EEEEDaS10_S11_EUlS10_E_NS1_11comp_targetILNS1_3genE5ELNS1_11target_archE942ELNS1_3gpuE9ELNS1_3repE0EEENS1_30default_config_static_selectorELNS0_4arch9wavefront6targetE0EEEvT1_
	.globl	_ZN7rocprim17ROCPRIM_400000_NS6detail17trampoline_kernelINS0_14default_configENS1_27scan_by_key_config_selectorImiEEZZNS1_16scan_by_key_implILNS1_25lookback_scan_determinismE0ELb0ES3_N6thrust23THRUST_200600_302600_NS18transform_iteratorI9row_indexNS9_17counting_iteratorImNS9_11use_defaultESD_SD_EESD_SD_EENS9_6detail15normal_iteratorINS9_10device_ptrIiEEEESK_iNS9_4plusIvEENS9_8equal_toIvEEiEE10hipError_tPvRmT2_T3_T4_T5_mT6_T7_P12ihipStream_tbENKUlT_T0_E_clISt17integral_constantIbLb0EES14_IbLb1EEEEDaS10_S11_EUlS10_E_NS1_11comp_targetILNS1_3genE5ELNS1_11target_archE942ELNS1_3gpuE9ELNS1_3repE0EEENS1_30default_config_static_selectorELNS0_4arch9wavefront6targetE0EEEvT1_
	.p2align	8
	.type	_ZN7rocprim17ROCPRIM_400000_NS6detail17trampoline_kernelINS0_14default_configENS1_27scan_by_key_config_selectorImiEEZZNS1_16scan_by_key_implILNS1_25lookback_scan_determinismE0ELb0ES3_N6thrust23THRUST_200600_302600_NS18transform_iteratorI9row_indexNS9_17counting_iteratorImNS9_11use_defaultESD_SD_EESD_SD_EENS9_6detail15normal_iteratorINS9_10device_ptrIiEEEESK_iNS9_4plusIvEENS9_8equal_toIvEEiEE10hipError_tPvRmT2_T3_T4_T5_mT6_T7_P12ihipStream_tbENKUlT_T0_E_clISt17integral_constantIbLb0EES14_IbLb1EEEEDaS10_S11_EUlS10_E_NS1_11comp_targetILNS1_3genE5ELNS1_11target_archE942ELNS1_3gpuE9ELNS1_3repE0EEENS1_30default_config_static_selectorELNS0_4arch9wavefront6targetE0EEEvT1_,@function
_ZN7rocprim17ROCPRIM_400000_NS6detail17trampoline_kernelINS0_14default_configENS1_27scan_by_key_config_selectorImiEEZZNS1_16scan_by_key_implILNS1_25lookback_scan_determinismE0ELb0ES3_N6thrust23THRUST_200600_302600_NS18transform_iteratorI9row_indexNS9_17counting_iteratorImNS9_11use_defaultESD_SD_EESD_SD_EENS9_6detail15normal_iteratorINS9_10device_ptrIiEEEESK_iNS9_4plusIvEENS9_8equal_toIvEEiEE10hipError_tPvRmT2_T3_T4_T5_mT6_T7_P12ihipStream_tbENKUlT_T0_E_clISt17integral_constantIbLb0EES14_IbLb1EEEEDaS10_S11_EUlS10_E_NS1_11comp_targetILNS1_3genE5ELNS1_11target_archE942ELNS1_3gpuE9ELNS1_3repE0EEENS1_30default_config_static_selectorELNS0_4arch9wavefront6targetE0EEEvT1_: ; @_ZN7rocprim17ROCPRIM_400000_NS6detail17trampoline_kernelINS0_14default_configENS1_27scan_by_key_config_selectorImiEEZZNS1_16scan_by_key_implILNS1_25lookback_scan_determinismE0ELb0ES3_N6thrust23THRUST_200600_302600_NS18transform_iteratorI9row_indexNS9_17counting_iteratorImNS9_11use_defaultESD_SD_EESD_SD_EENS9_6detail15normal_iteratorINS9_10device_ptrIiEEEESK_iNS9_4plusIvEENS9_8equal_toIvEEiEE10hipError_tPvRmT2_T3_T4_T5_mT6_T7_P12ihipStream_tbENKUlT_T0_E_clISt17integral_constantIbLb0EES14_IbLb1EEEEDaS10_S11_EUlS10_E_NS1_11comp_targetILNS1_3genE5ELNS1_11target_archE942ELNS1_3gpuE9ELNS1_3repE0EEENS1_30default_config_static_selectorELNS0_4arch9wavefront6targetE0EEEvT1_
; %bb.0:
	.section	.rodata,"a",@progbits
	.p2align	6, 0x0
	.amdhsa_kernel _ZN7rocprim17ROCPRIM_400000_NS6detail17trampoline_kernelINS0_14default_configENS1_27scan_by_key_config_selectorImiEEZZNS1_16scan_by_key_implILNS1_25lookback_scan_determinismE0ELb0ES3_N6thrust23THRUST_200600_302600_NS18transform_iteratorI9row_indexNS9_17counting_iteratorImNS9_11use_defaultESD_SD_EESD_SD_EENS9_6detail15normal_iteratorINS9_10device_ptrIiEEEESK_iNS9_4plusIvEENS9_8equal_toIvEEiEE10hipError_tPvRmT2_T3_T4_T5_mT6_T7_P12ihipStream_tbENKUlT_T0_E_clISt17integral_constantIbLb0EES14_IbLb1EEEEDaS10_S11_EUlS10_E_NS1_11comp_targetILNS1_3genE5ELNS1_11target_archE942ELNS1_3gpuE9ELNS1_3repE0EEENS1_30default_config_static_selectorELNS0_4arch9wavefront6targetE0EEEvT1_
		.amdhsa_group_segment_fixed_size 0
		.amdhsa_private_segment_fixed_size 0
		.amdhsa_kernarg_size 120
		.amdhsa_user_sgpr_count 15
		.amdhsa_user_sgpr_dispatch_ptr 0
		.amdhsa_user_sgpr_queue_ptr 0
		.amdhsa_user_sgpr_kernarg_segment_ptr 1
		.amdhsa_user_sgpr_dispatch_id 0
		.amdhsa_user_sgpr_private_segment_size 0
		.amdhsa_wavefront_size32 1
		.amdhsa_uses_dynamic_stack 0
		.amdhsa_enable_private_segment 0
		.amdhsa_system_sgpr_workgroup_id_x 1
		.amdhsa_system_sgpr_workgroup_id_y 0
		.amdhsa_system_sgpr_workgroup_id_z 0
		.amdhsa_system_sgpr_workgroup_info 0
		.amdhsa_system_vgpr_workitem_id 0
		.amdhsa_next_free_vgpr 1
		.amdhsa_next_free_sgpr 1
		.amdhsa_reserve_vcc 0
		.amdhsa_float_round_mode_32 0
		.amdhsa_float_round_mode_16_64 0
		.amdhsa_float_denorm_mode_32 3
		.amdhsa_float_denorm_mode_16_64 3
		.amdhsa_dx10_clamp 1
		.amdhsa_ieee_mode 1
		.amdhsa_fp16_overflow 0
		.amdhsa_workgroup_processor_mode 1
		.amdhsa_memory_ordered 1
		.amdhsa_forward_progress 0
		.amdhsa_shared_vgpr_count 0
		.amdhsa_exception_fp_ieee_invalid_op 0
		.amdhsa_exception_fp_denorm_src 0
		.amdhsa_exception_fp_ieee_div_zero 0
		.amdhsa_exception_fp_ieee_overflow 0
		.amdhsa_exception_fp_ieee_underflow 0
		.amdhsa_exception_fp_ieee_inexact 0
		.amdhsa_exception_int_div_zero 0
	.end_amdhsa_kernel
	.section	.text._ZN7rocprim17ROCPRIM_400000_NS6detail17trampoline_kernelINS0_14default_configENS1_27scan_by_key_config_selectorImiEEZZNS1_16scan_by_key_implILNS1_25lookback_scan_determinismE0ELb0ES3_N6thrust23THRUST_200600_302600_NS18transform_iteratorI9row_indexNS9_17counting_iteratorImNS9_11use_defaultESD_SD_EESD_SD_EENS9_6detail15normal_iteratorINS9_10device_ptrIiEEEESK_iNS9_4plusIvEENS9_8equal_toIvEEiEE10hipError_tPvRmT2_T3_T4_T5_mT6_T7_P12ihipStream_tbENKUlT_T0_E_clISt17integral_constantIbLb0EES14_IbLb1EEEEDaS10_S11_EUlS10_E_NS1_11comp_targetILNS1_3genE5ELNS1_11target_archE942ELNS1_3gpuE9ELNS1_3repE0EEENS1_30default_config_static_selectorELNS0_4arch9wavefront6targetE0EEEvT1_,"axG",@progbits,_ZN7rocprim17ROCPRIM_400000_NS6detail17trampoline_kernelINS0_14default_configENS1_27scan_by_key_config_selectorImiEEZZNS1_16scan_by_key_implILNS1_25lookback_scan_determinismE0ELb0ES3_N6thrust23THRUST_200600_302600_NS18transform_iteratorI9row_indexNS9_17counting_iteratorImNS9_11use_defaultESD_SD_EESD_SD_EENS9_6detail15normal_iteratorINS9_10device_ptrIiEEEESK_iNS9_4plusIvEENS9_8equal_toIvEEiEE10hipError_tPvRmT2_T3_T4_T5_mT6_T7_P12ihipStream_tbENKUlT_T0_E_clISt17integral_constantIbLb0EES14_IbLb1EEEEDaS10_S11_EUlS10_E_NS1_11comp_targetILNS1_3genE5ELNS1_11target_archE942ELNS1_3gpuE9ELNS1_3repE0EEENS1_30default_config_static_selectorELNS0_4arch9wavefront6targetE0EEEvT1_,comdat
.Lfunc_end38:
	.size	_ZN7rocprim17ROCPRIM_400000_NS6detail17trampoline_kernelINS0_14default_configENS1_27scan_by_key_config_selectorImiEEZZNS1_16scan_by_key_implILNS1_25lookback_scan_determinismE0ELb0ES3_N6thrust23THRUST_200600_302600_NS18transform_iteratorI9row_indexNS9_17counting_iteratorImNS9_11use_defaultESD_SD_EESD_SD_EENS9_6detail15normal_iteratorINS9_10device_ptrIiEEEESK_iNS9_4plusIvEENS9_8equal_toIvEEiEE10hipError_tPvRmT2_T3_T4_T5_mT6_T7_P12ihipStream_tbENKUlT_T0_E_clISt17integral_constantIbLb0EES14_IbLb1EEEEDaS10_S11_EUlS10_E_NS1_11comp_targetILNS1_3genE5ELNS1_11target_archE942ELNS1_3gpuE9ELNS1_3repE0EEENS1_30default_config_static_selectorELNS0_4arch9wavefront6targetE0EEEvT1_, .Lfunc_end38-_ZN7rocprim17ROCPRIM_400000_NS6detail17trampoline_kernelINS0_14default_configENS1_27scan_by_key_config_selectorImiEEZZNS1_16scan_by_key_implILNS1_25lookback_scan_determinismE0ELb0ES3_N6thrust23THRUST_200600_302600_NS18transform_iteratorI9row_indexNS9_17counting_iteratorImNS9_11use_defaultESD_SD_EESD_SD_EENS9_6detail15normal_iteratorINS9_10device_ptrIiEEEESK_iNS9_4plusIvEENS9_8equal_toIvEEiEE10hipError_tPvRmT2_T3_T4_T5_mT6_T7_P12ihipStream_tbENKUlT_T0_E_clISt17integral_constantIbLb0EES14_IbLb1EEEEDaS10_S11_EUlS10_E_NS1_11comp_targetILNS1_3genE5ELNS1_11target_archE942ELNS1_3gpuE9ELNS1_3repE0EEENS1_30default_config_static_selectorELNS0_4arch9wavefront6targetE0EEEvT1_
                                        ; -- End function
	.section	.AMDGPU.csdata,"",@progbits
; Kernel info:
; codeLenInByte = 0
; NumSgprs: 0
; NumVgprs: 0
; ScratchSize: 0
; MemoryBound: 0
; FloatMode: 240
; IeeeMode: 1
; LDSByteSize: 0 bytes/workgroup (compile time only)
; SGPRBlocks: 0
; VGPRBlocks: 0
; NumSGPRsForWavesPerEU: 1
; NumVGPRsForWavesPerEU: 1
; Occupancy: 16
; WaveLimiterHint : 0
; COMPUTE_PGM_RSRC2:SCRATCH_EN: 0
; COMPUTE_PGM_RSRC2:USER_SGPR: 15
; COMPUTE_PGM_RSRC2:TRAP_HANDLER: 0
; COMPUTE_PGM_RSRC2:TGID_X_EN: 1
; COMPUTE_PGM_RSRC2:TGID_Y_EN: 0
; COMPUTE_PGM_RSRC2:TGID_Z_EN: 0
; COMPUTE_PGM_RSRC2:TIDIG_COMP_CNT: 0
	.section	.text._ZN7rocprim17ROCPRIM_400000_NS6detail17trampoline_kernelINS0_14default_configENS1_27scan_by_key_config_selectorImiEEZZNS1_16scan_by_key_implILNS1_25lookback_scan_determinismE0ELb0ES3_N6thrust23THRUST_200600_302600_NS18transform_iteratorI9row_indexNS9_17counting_iteratorImNS9_11use_defaultESD_SD_EESD_SD_EENS9_6detail15normal_iteratorINS9_10device_ptrIiEEEESK_iNS9_4plusIvEENS9_8equal_toIvEEiEE10hipError_tPvRmT2_T3_T4_T5_mT6_T7_P12ihipStream_tbENKUlT_T0_E_clISt17integral_constantIbLb0EES14_IbLb1EEEEDaS10_S11_EUlS10_E_NS1_11comp_targetILNS1_3genE4ELNS1_11target_archE910ELNS1_3gpuE8ELNS1_3repE0EEENS1_30default_config_static_selectorELNS0_4arch9wavefront6targetE0EEEvT1_,"axG",@progbits,_ZN7rocprim17ROCPRIM_400000_NS6detail17trampoline_kernelINS0_14default_configENS1_27scan_by_key_config_selectorImiEEZZNS1_16scan_by_key_implILNS1_25lookback_scan_determinismE0ELb0ES3_N6thrust23THRUST_200600_302600_NS18transform_iteratorI9row_indexNS9_17counting_iteratorImNS9_11use_defaultESD_SD_EESD_SD_EENS9_6detail15normal_iteratorINS9_10device_ptrIiEEEESK_iNS9_4plusIvEENS9_8equal_toIvEEiEE10hipError_tPvRmT2_T3_T4_T5_mT6_T7_P12ihipStream_tbENKUlT_T0_E_clISt17integral_constantIbLb0EES14_IbLb1EEEEDaS10_S11_EUlS10_E_NS1_11comp_targetILNS1_3genE4ELNS1_11target_archE910ELNS1_3gpuE8ELNS1_3repE0EEENS1_30default_config_static_selectorELNS0_4arch9wavefront6targetE0EEEvT1_,comdat
	.protected	_ZN7rocprim17ROCPRIM_400000_NS6detail17trampoline_kernelINS0_14default_configENS1_27scan_by_key_config_selectorImiEEZZNS1_16scan_by_key_implILNS1_25lookback_scan_determinismE0ELb0ES3_N6thrust23THRUST_200600_302600_NS18transform_iteratorI9row_indexNS9_17counting_iteratorImNS9_11use_defaultESD_SD_EESD_SD_EENS9_6detail15normal_iteratorINS9_10device_ptrIiEEEESK_iNS9_4plusIvEENS9_8equal_toIvEEiEE10hipError_tPvRmT2_T3_T4_T5_mT6_T7_P12ihipStream_tbENKUlT_T0_E_clISt17integral_constantIbLb0EES14_IbLb1EEEEDaS10_S11_EUlS10_E_NS1_11comp_targetILNS1_3genE4ELNS1_11target_archE910ELNS1_3gpuE8ELNS1_3repE0EEENS1_30default_config_static_selectorELNS0_4arch9wavefront6targetE0EEEvT1_ ; -- Begin function _ZN7rocprim17ROCPRIM_400000_NS6detail17trampoline_kernelINS0_14default_configENS1_27scan_by_key_config_selectorImiEEZZNS1_16scan_by_key_implILNS1_25lookback_scan_determinismE0ELb0ES3_N6thrust23THRUST_200600_302600_NS18transform_iteratorI9row_indexNS9_17counting_iteratorImNS9_11use_defaultESD_SD_EESD_SD_EENS9_6detail15normal_iteratorINS9_10device_ptrIiEEEESK_iNS9_4plusIvEENS9_8equal_toIvEEiEE10hipError_tPvRmT2_T3_T4_T5_mT6_T7_P12ihipStream_tbENKUlT_T0_E_clISt17integral_constantIbLb0EES14_IbLb1EEEEDaS10_S11_EUlS10_E_NS1_11comp_targetILNS1_3genE4ELNS1_11target_archE910ELNS1_3gpuE8ELNS1_3repE0EEENS1_30default_config_static_selectorELNS0_4arch9wavefront6targetE0EEEvT1_
	.globl	_ZN7rocprim17ROCPRIM_400000_NS6detail17trampoline_kernelINS0_14default_configENS1_27scan_by_key_config_selectorImiEEZZNS1_16scan_by_key_implILNS1_25lookback_scan_determinismE0ELb0ES3_N6thrust23THRUST_200600_302600_NS18transform_iteratorI9row_indexNS9_17counting_iteratorImNS9_11use_defaultESD_SD_EESD_SD_EENS9_6detail15normal_iteratorINS9_10device_ptrIiEEEESK_iNS9_4plusIvEENS9_8equal_toIvEEiEE10hipError_tPvRmT2_T3_T4_T5_mT6_T7_P12ihipStream_tbENKUlT_T0_E_clISt17integral_constantIbLb0EES14_IbLb1EEEEDaS10_S11_EUlS10_E_NS1_11comp_targetILNS1_3genE4ELNS1_11target_archE910ELNS1_3gpuE8ELNS1_3repE0EEENS1_30default_config_static_selectorELNS0_4arch9wavefront6targetE0EEEvT1_
	.p2align	8
	.type	_ZN7rocprim17ROCPRIM_400000_NS6detail17trampoline_kernelINS0_14default_configENS1_27scan_by_key_config_selectorImiEEZZNS1_16scan_by_key_implILNS1_25lookback_scan_determinismE0ELb0ES3_N6thrust23THRUST_200600_302600_NS18transform_iteratorI9row_indexNS9_17counting_iteratorImNS9_11use_defaultESD_SD_EESD_SD_EENS9_6detail15normal_iteratorINS9_10device_ptrIiEEEESK_iNS9_4plusIvEENS9_8equal_toIvEEiEE10hipError_tPvRmT2_T3_T4_T5_mT6_T7_P12ihipStream_tbENKUlT_T0_E_clISt17integral_constantIbLb0EES14_IbLb1EEEEDaS10_S11_EUlS10_E_NS1_11comp_targetILNS1_3genE4ELNS1_11target_archE910ELNS1_3gpuE8ELNS1_3repE0EEENS1_30default_config_static_selectorELNS0_4arch9wavefront6targetE0EEEvT1_,@function
_ZN7rocprim17ROCPRIM_400000_NS6detail17trampoline_kernelINS0_14default_configENS1_27scan_by_key_config_selectorImiEEZZNS1_16scan_by_key_implILNS1_25lookback_scan_determinismE0ELb0ES3_N6thrust23THRUST_200600_302600_NS18transform_iteratorI9row_indexNS9_17counting_iteratorImNS9_11use_defaultESD_SD_EESD_SD_EENS9_6detail15normal_iteratorINS9_10device_ptrIiEEEESK_iNS9_4plusIvEENS9_8equal_toIvEEiEE10hipError_tPvRmT2_T3_T4_T5_mT6_T7_P12ihipStream_tbENKUlT_T0_E_clISt17integral_constantIbLb0EES14_IbLb1EEEEDaS10_S11_EUlS10_E_NS1_11comp_targetILNS1_3genE4ELNS1_11target_archE910ELNS1_3gpuE8ELNS1_3repE0EEENS1_30default_config_static_selectorELNS0_4arch9wavefront6targetE0EEEvT1_: ; @_ZN7rocprim17ROCPRIM_400000_NS6detail17trampoline_kernelINS0_14default_configENS1_27scan_by_key_config_selectorImiEEZZNS1_16scan_by_key_implILNS1_25lookback_scan_determinismE0ELb0ES3_N6thrust23THRUST_200600_302600_NS18transform_iteratorI9row_indexNS9_17counting_iteratorImNS9_11use_defaultESD_SD_EESD_SD_EENS9_6detail15normal_iteratorINS9_10device_ptrIiEEEESK_iNS9_4plusIvEENS9_8equal_toIvEEiEE10hipError_tPvRmT2_T3_T4_T5_mT6_T7_P12ihipStream_tbENKUlT_T0_E_clISt17integral_constantIbLb0EES14_IbLb1EEEEDaS10_S11_EUlS10_E_NS1_11comp_targetILNS1_3genE4ELNS1_11target_archE910ELNS1_3gpuE8ELNS1_3repE0EEENS1_30default_config_static_selectorELNS0_4arch9wavefront6targetE0EEEvT1_
; %bb.0:
	.section	.rodata,"a",@progbits
	.p2align	6, 0x0
	.amdhsa_kernel _ZN7rocprim17ROCPRIM_400000_NS6detail17trampoline_kernelINS0_14default_configENS1_27scan_by_key_config_selectorImiEEZZNS1_16scan_by_key_implILNS1_25lookback_scan_determinismE0ELb0ES3_N6thrust23THRUST_200600_302600_NS18transform_iteratorI9row_indexNS9_17counting_iteratorImNS9_11use_defaultESD_SD_EESD_SD_EENS9_6detail15normal_iteratorINS9_10device_ptrIiEEEESK_iNS9_4plusIvEENS9_8equal_toIvEEiEE10hipError_tPvRmT2_T3_T4_T5_mT6_T7_P12ihipStream_tbENKUlT_T0_E_clISt17integral_constantIbLb0EES14_IbLb1EEEEDaS10_S11_EUlS10_E_NS1_11comp_targetILNS1_3genE4ELNS1_11target_archE910ELNS1_3gpuE8ELNS1_3repE0EEENS1_30default_config_static_selectorELNS0_4arch9wavefront6targetE0EEEvT1_
		.amdhsa_group_segment_fixed_size 0
		.amdhsa_private_segment_fixed_size 0
		.amdhsa_kernarg_size 120
		.amdhsa_user_sgpr_count 15
		.amdhsa_user_sgpr_dispatch_ptr 0
		.amdhsa_user_sgpr_queue_ptr 0
		.amdhsa_user_sgpr_kernarg_segment_ptr 1
		.amdhsa_user_sgpr_dispatch_id 0
		.amdhsa_user_sgpr_private_segment_size 0
		.amdhsa_wavefront_size32 1
		.amdhsa_uses_dynamic_stack 0
		.amdhsa_enable_private_segment 0
		.amdhsa_system_sgpr_workgroup_id_x 1
		.amdhsa_system_sgpr_workgroup_id_y 0
		.amdhsa_system_sgpr_workgroup_id_z 0
		.amdhsa_system_sgpr_workgroup_info 0
		.amdhsa_system_vgpr_workitem_id 0
		.amdhsa_next_free_vgpr 1
		.amdhsa_next_free_sgpr 1
		.amdhsa_reserve_vcc 0
		.amdhsa_float_round_mode_32 0
		.amdhsa_float_round_mode_16_64 0
		.amdhsa_float_denorm_mode_32 3
		.amdhsa_float_denorm_mode_16_64 3
		.amdhsa_dx10_clamp 1
		.amdhsa_ieee_mode 1
		.amdhsa_fp16_overflow 0
		.amdhsa_workgroup_processor_mode 1
		.amdhsa_memory_ordered 1
		.amdhsa_forward_progress 0
		.amdhsa_shared_vgpr_count 0
		.amdhsa_exception_fp_ieee_invalid_op 0
		.amdhsa_exception_fp_denorm_src 0
		.amdhsa_exception_fp_ieee_div_zero 0
		.amdhsa_exception_fp_ieee_overflow 0
		.amdhsa_exception_fp_ieee_underflow 0
		.amdhsa_exception_fp_ieee_inexact 0
		.amdhsa_exception_int_div_zero 0
	.end_amdhsa_kernel
	.section	.text._ZN7rocprim17ROCPRIM_400000_NS6detail17trampoline_kernelINS0_14default_configENS1_27scan_by_key_config_selectorImiEEZZNS1_16scan_by_key_implILNS1_25lookback_scan_determinismE0ELb0ES3_N6thrust23THRUST_200600_302600_NS18transform_iteratorI9row_indexNS9_17counting_iteratorImNS9_11use_defaultESD_SD_EESD_SD_EENS9_6detail15normal_iteratorINS9_10device_ptrIiEEEESK_iNS9_4plusIvEENS9_8equal_toIvEEiEE10hipError_tPvRmT2_T3_T4_T5_mT6_T7_P12ihipStream_tbENKUlT_T0_E_clISt17integral_constantIbLb0EES14_IbLb1EEEEDaS10_S11_EUlS10_E_NS1_11comp_targetILNS1_3genE4ELNS1_11target_archE910ELNS1_3gpuE8ELNS1_3repE0EEENS1_30default_config_static_selectorELNS0_4arch9wavefront6targetE0EEEvT1_,"axG",@progbits,_ZN7rocprim17ROCPRIM_400000_NS6detail17trampoline_kernelINS0_14default_configENS1_27scan_by_key_config_selectorImiEEZZNS1_16scan_by_key_implILNS1_25lookback_scan_determinismE0ELb0ES3_N6thrust23THRUST_200600_302600_NS18transform_iteratorI9row_indexNS9_17counting_iteratorImNS9_11use_defaultESD_SD_EESD_SD_EENS9_6detail15normal_iteratorINS9_10device_ptrIiEEEESK_iNS9_4plusIvEENS9_8equal_toIvEEiEE10hipError_tPvRmT2_T3_T4_T5_mT6_T7_P12ihipStream_tbENKUlT_T0_E_clISt17integral_constantIbLb0EES14_IbLb1EEEEDaS10_S11_EUlS10_E_NS1_11comp_targetILNS1_3genE4ELNS1_11target_archE910ELNS1_3gpuE8ELNS1_3repE0EEENS1_30default_config_static_selectorELNS0_4arch9wavefront6targetE0EEEvT1_,comdat
.Lfunc_end39:
	.size	_ZN7rocprim17ROCPRIM_400000_NS6detail17trampoline_kernelINS0_14default_configENS1_27scan_by_key_config_selectorImiEEZZNS1_16scan_by_key_implILNS1_25lookback_scan_determinismE0ELb0ES3_N6thrust23THRUST_200600_302600_NS18transform_iteratorI9row_indexNS9_17counting_iteratorImNS9_11use_defaultESD_SD_EESD_SD_EENS9_6detail15normal_iteratorINS9_10device_ptrIiEEEESK_iNS9_4plusIvEENS9_8equal_toIvEEiEE10hipError_tPvRmT2_T3_T4_T5_mT6_T7_P12ihipStream_tbENKUlT_T0_E_clISt17integral_constantIbLb0EES14_IbLb1EEEEDaS10_S11_EUlS10_E_NS1_11comp_targetILNS1_3genE4ELNS1_11target_archE910ELNS1_3gpuE8ELNS1_3repE0EEENS1_30default_config_static_selectorELNS0_4arch9wavefront6targetE0EEEvT1_, .Lfunc_end39-_ZN7rocprim17ROCPRIM_400000_NS6detail17trampoline_kernelINS0_14default_configENS1_27scan_by_key_config_selectorImiEEZZNS1_16scan_by_key_implILNS1_25lookback_scan_determinismE0ELb0ES3_N6thrust23THRUST_200600_302600_NS18transform_iteratorI9row_indexNS9_17counting_iteratorImNS9_11use_defaultESD_SD_EESD_SD_EENS9_6detail15normal_iteratorINS9_10device_ptrIiEEEESK_iNS9_4plusIvEENS9_8equal_toIvEEiEE10hipError_tPvRmT2_T3_T4_T5_mT6_T7_P12ihipStream_tbENKUlT_T0_E_clISt17integral_constantIbLb0EES14_IbLb1EEEEDaS10_S11_EUlS10_E_NS1_11comp_targetILNS1_3genE4ELNS1_11target_archE910ELNS1_3gpuE8ELNS1_3repE0EEENS1_30default_config_static_selectorELNS0_4arch9wavefront6targetE0EEEvT1_
                                        ; -- End function
	.section	.AMDGPU.csdata,"",@progbits
; Kernel info:
; codeLenInByte = 0
; NumSgprs: 0
; NumVgprs: 0
; ScratchSize: 0
; MemoryBound: 0
; FloatMode: 240
; IeeeMode: 1
; LDSByteSize: 0 bytes/workgroup (compile time only)
; SGPRBlocks: 0
; VGPRBlocks: 0
; NumSGPRsForWavesPerEU: 1
; NumVGPRsForWavesPerEU: 1
; Occupancy: 16
; WaveLimiterHint : 0
; COMPUTE_PGM_RSRC2:SCRATCH_EN: 0
; COMPUTE_PGM_RSRC2:USER_SGPR: 15
; COMPUTE_PGM_RSRC2:TRAP_HANDLER: 0
; COMPUTE_PGM_RSRC2:TGID_X_EN: 1
; COMPUTE_PGM_RSRC2:TGID_Y_EN: 0
; COMPUTE_PGM_RSRC2:TGID_Z_EN: 0
; COMPUTE_PGM_RSRC2:TIDIG_COMP_CNT: 0
	.section	.text._ZN7rocprim17ROCPRIM_400000_NS6detail17trampoline_kernelINS0_14default_configENS1_27scan_by_key_config_selectorImiEEZZNS1_16scan_by_key_implILNS1_25lookback_scan_determinismE0ELb0ES3_N6thrust23THRUST_200600_302600_NS18transform_iteratorI9row_indexNS9_17counting_iteratorImNS9_11use_defaultESD_SD_EESD_SD_EENS9_6detail15normal_iteratorINS9_10device_ptrIiEEEESK_iNS9_4plusIvEENS9_8equal_toIvEEiEE10hipError_tPvRmT2_T3_T4_T5_mT6_T7_P12ihipStream_tbENKUlT_T0_E_clISt17integral_constantIbLb0EES14_IbLb1EEEEDaS10_S11_EUlS10_E_NS1_11comp_targetILNS1_3genE3ELNS1_11target_archE908ELNS1_3gpuE7ELNS1_3repE0EEENS1_30default_config_static_selectorELNS0_4arch9wavefront6targetE0EEEvT1_,"axG",@progbits,_ZN7rocprim17ROCPRIM_400000_NS6detail17trampoline_kernelINS0_14default_configENS1_27scan_by_key_config_selectorImiEEZZNS1_16scan_by_key_implILNS1_25lookback_scan_determinismE0ELb0ES3_N6thrust23THRUST_200600_302600_NS18transform_iteratorI9row_indexNS9_17counting_iteratorImNS9_11use_defaultESD_SD_EESD_SD_EENS9_6detail15normal_iteratorINS9_10device_ptrIiEEEESK_iNS9_4plusIvEENS9_8equal_toIvEEiEE10hipError_tPvRmT2_T3_T4_T5_mT6_T7_P12ihipStream_tbENKUlT_T0_E_clISt17integral_constantIbLb0EES14_IbLb1EEEEDaS10_S11_EUlS10_E_NS1_11comp_targetILNS1_3genE3ELNS1_11target_archE908ELNS1_3gpuE7ELNS1_3repE0EEENS1_30default_config_static_selectorELNS0_4arch9wavefront6targetE0EEEvT1_,comdat
	.protected	_ZN7rocprim17ROCPRIM_400000_NS6detail17trampoline_kernelINS0_14default_configENS1_27scan_by_key_config_selectorImiEEZZNS1_16scan_by_key_implILNS1_25lookback_scan_determinismE0ELb0ES3_N6thrust23THRUST_200600_302600_NS18transform_iteratorI9row_indexNS9_17counting_iteratorImNS9_11use_defaultESD_SD_EESD_SD_EENS9_6detail15normal_iteratorINS9_10device_ptrIiEEEESK_iNS9_4plusIvEENS9_8equal_toIvEEiEE10hipError_tPvRmT2_T3_T4_T5_mT6_T7_P12ihipStream_tbENKUlT_T0_E_clISt17integral_constantIbLb0EES14_IbLb1EEEEDaS10_S11_EUlS10_E_NS1_11comp_targetILNS1_3genE3ELNS1_11target_archE908ELNS1_3gpuE7ELNS1_3repE0EEENS1_30default_config_static_selectorELNS0_4arch9wavefront6targetE0EEEvT1_ ; -- Begin function _ZN7rocprim17ROCPRIM_400000_NS6detail17trampoline_kernelINS0_14default_configENS1_27scan_by_key_config_selectorImiEEZZNS1_16scan_by_key_implILNS1_25lookback_scan_determinismE0ELb0ES3_N6thrust23THRUST_200600_302600_NS18transform_iteratorI9row_indexNS9_17counting_iteratorImNS9_11use_defaultESD_SD_EESD_SD_EENS9_6detail15normal_iteratorINS9_10device_ptrIiEEEESK_iNS9_4plusIvEENS9_8equal_toIvEEiEE10hipError_tPvRmT2_T3_T4_T5_mT6_T7_P12ihipStream_tbENKUlT_T0_E_clISt17integral_constantIbLb0EES14_IbLb1EEEEDaS10_S11_EUlS10_E_NS1_11comp_targetILNS1_3genE3ELNS1_11target_archE908ELNS1_3gpuE7ELNS1_3repE0EEENS1_30default_config_static_selectorELNS0_4arch9wavefront6targetE0EEEvT1_
	.globl	_ZN7rocprim17ROCPRIM_400000_NS6detail17trampoline_kernelINS0_14default_configENS1_27scan_by_key_config_selectorImiEEZZNS1_16scan_by_key_implILNS1_25lookback_scan_determinismE0ELb0ES3_N6thrust23THRUST_200600_302600_NS18transform_iteratorI9row_indexNS9_17counting_iteratorImNS9_11use_defaultESD_SD_EESD_SD_EENS9_6detail15normal_iteratorINS9_10device_ptrIiEEEESK_iNS9_4plusIvEENS9_8equal_toIvEEiEE10hipError_tPvRmT2_T3_T4_T5_mT6_T7_P12ihipStream_tbENKUlT_T0_E_clISt17integral_constantIbLb0EES14_IbLb1EEEEDaS10_S11_EUlS10_E_NS1_11comp_targetILNS1_3genE3ELNS1_11target_archE908ELNS1_3gpuE7ELNS1_3repE0EEENS1_30default_config_static_selectorELNS0_4arch9wavefront6targetE0EEEvT1_
	.p2align	8
	.type	_ZN7rocprim17ROCPRIM_400000_NS6detail17trampoline_kernelINS0_14default_configENS1_27scan_by_key_config_selectorImiEEZZNS1_16scan_by_key_implILNS1_25lookback_scan_determinismE0ELb0ES3_N6thrust23THRUST_200600_302600_NS18transform_iteratorI9row_indexNS9_17counting_iteratorImNS9_11use_defaultESD_SD_EESD_SD_EENS9_6detail15normal_iteratorINS9_10device_ptrIiEEEESK_iNS9_4plusIvEENS9_8equal_toIvEEiEE10hipError_tPvRmT2_T3_T4_T5_mT6_T7_P12ihipStream_tbENKUlT_T0_E_clISt17integral_constantIbLb0EES14_IbLb1EEEEDaS10_S11_EUlS10_E_NS1_11comp_targetILNS1_3genE3ELNS1_11target_archE908ELNS1_3gpuE7ELNS1_3repE0EEENS1_30default_config_static_selectorELNS0_4arch9wavefront6targetE0EEEvT1_,@function
_ZN7rocprim17ROCPRIM_400000_NS6detail17trampoline_kernelINS0_14default_configENS1_27scan_by_key_config_selectorImiEEZZNS1_16scan_by_key_implILNS1_25lookback_scan_determinismE0ELb0ES3_N6thrust23THRUST_200600_302600_NS18transform_iteratorI9row_indexNS9_17counting_iteratorImNS9_11use_defaultESD_SD_EESD_SD_EENS9_6detail15normal_iteratorINS9_10device_ptrIiEEEESK_iNS9_4plusIvEENS9_8equal_toIvEEiEE10hipError_tPvRmT2_T3_T4_T5_mT6_T7_P12ihipStream_tbENKUlT_T0_E_clISt17integral_constantIbLb0EES14_IbLb1EEEEDaS10_S11_EUlS10_E_NS1_11comp_targetILNS1_3genE3ELNS1_11target_archE908ELNS1_3gpuE7ELNS1_3repE0EEENS1_30default_config_static_selectorELNS0_4arch9wavefront6targetE0EEEvT1_: ; @_ZN7rocprim17ROCPRIM_400000_NS6detail17trampoline_kernelINS0_14default_configENS1_27scan_by_key_config_selectorImiEEZZNS1_16scan_by_key_implILNS1_25lookback_scan_determinismE0ELb0ES3_N6thrust23THRUST_200600_302600_NS18transform_iteratorI9row_indexNS9_17counting_iteratorImNS9_11use_defaultESD_SD_EESD_SD_EENS9_6detail15normal_iteratorINS9_10device_ptrIiEEEESK_iNS9_4plusIvEENS9_8equal_toIvEEiEE10hipError_tPvRmT2_T3_T4_T5_mT6_T7_P12ihipStream_tbENKUlT_T0_E_clISt17integral_constantIbLb0EES14_IbLb1EEEEDaS10_S11_EUlS10_E_NS1_11comp_targetILNS1_3genE3ELNS1_11target_archE908ELNS1_3gpuE7ELNS1_3repE0EEENS1_30default_config_static_selectorELNS0_4arch9wavefront6targetE0EEEvT1_
; %bb.0:
	.section	.rodata,"a",@progbits
	.p2align	6, 0x0
	.amdhsa_kernel _ZN7rocprim17ROCPRIM_400000_NS6detail17trampoline_kernelINS0_14default_configENS1_27scan_by_key_config_selectorImiEEZZNS1_16scan_by_key_implILNS1_25lookback_scan_determinismE0ELb0ES3_N6thrust23THRUST_200600_302600_NS18transform_iteratorI9row_indexNS9_17counting_iteratorImNS9_11use_defaultESD_SD_EESD_SD_EENS9_6detail15normal_iteratorINS9_10device_ptrIiEEEESK_iNS9_4plusIvEENS9_8equal_toIvEEiEE10hipError_tPvRmT2_T3_T4_T5_mT6_T7_P12ihipStream_tbENKUlT_T0_E_clISt17integral_constantIbLb0EES14_IbLb1EEEEDaS10_S11_EUlS10_E_NS1_11comp_targetILNS1_3genE3ELNS1_11target_archE908ELNS1_3gpuE7ELNS1_3repE0EEENS1_30default_config_static_selectorELNS0_4arch9wavefront6targetE0EEEvT1_
		.amdhsa_group_segment_fixed_size 0
		.amdhsa_private_segment_fixed_size 0
		.amdhsa_kernarg_size 120
		.amdhsa_user_sgpr_count 15
		.amdhsa_user_sgpr_dispatch_ptr 0
		.amdhsa_user_sgpr_queue_ptr 0
		.amdhsa_user_sgpr_kernarg_segment_ptr 1
		.amdhsa_user_sgpr_dispatch_id 0
		.amdhsa_user_sgpr_private_segment_size 0
		.amdhsa_wavefront_size32 1
		.amdhsa_uses_dynamic_stack 0
		.amdhsa_enable_private_segment 0
		.amdhsa_system_sgpr_workgroup_id_x 1
		.amdhsa_system_sgpr_workgroup_id_y 0
		.amdhsa_system_sgpr_workgroup_id_z 0
		.amdhsa_system_sgpr_workgroup_info 0
		.amdhsa_system_vgpr_workitem_id 0
		.amdhsa_next_free_vgpr 1
		.amdhsa_next_free_sgpr 1
		.amdhsa_reserve_vcc 0
		.amdhsa_float_round_mode_32 0
		.amdhsa_float_round_mode_16_64 0
		.amdhsa_float_denorm_mode_32 3
		.amdhsa_float_denorm_mode_16_64 3
		.amdhsa_dx10_clamp 1
		.amdhsa_ieee_mode 1
		.amdhsa_fp16_overflow 0
		.amdhsa_workgroup_processor_mode 1
		.amdhsa_memory_ordered 1
		.amdhsa_forward_progress 0
		.amdhsa_shared_vgpr_count 0
		.amdhsa_exception_fp_ieee_invalid_op 0
		.amdhsa_exception_fp_denorm_src 0
		.amdhsa_exception_fp_ieee_div_zero 0
		.amdhsa_exception_fp_ieee_overflow 0
		.amdhsa_exception_fp_ieee_underflow 0
		.amdhsa_exception_fp_ieee_inexact 0
		.amdhsa_exception_int_div_zero 0
	.end_amdhsa_kernel
	.section	.text._ZN7rocprim17ROCPRIM_400000_NS6detail17trampoline_kernelINS0_14default_configENS1_27scan_by_key_config_selectorImiEEZZNS1_16scan_by_key_implILNS1_25lookback_scan_determinismE0ELb0ES3_N6thrust23THRUST_200600_302600_NS18transform_iteratorI9row_indexNS9_17counting_iteratorImNS9_11use_defaultESD_SD_EESD_SD_EENS9_6detail15normal_iteratorINS9_10device_ptrIiEEEESK_iNS9_4plusIvEENS9_8equal_toIvEEiEE10hipError_tPvRmT2_T3_T4_T5_mT6_T7_P12ihipStream_tbENKUlT_T0_E_clISt17integral_constantIbLb0EES14_IbLb1EEEEDaS10_S11_EUlS10_E_NS1_11comp_targetILNS1_3genE3ELNS1_11target_archE908ELNS1_3gpuE7ELNS1_3repE0EEENS1_30default_config_static_selectorELNS0_4arch9wavefront6targetE0EEEvT1_,"axG",@progbits,_ZN7rocprim17ROCPRIM_400000_NS6detail17trampoline_kernelINS0_14default_configENS1_27scan_by_key_config_selectorImiEEZZNS1_16scan_by_key_implILNS1_25lookback_scan_determinismE0ELb0ES3_N6thrust23THRUST_200600_302600_NS18transform_iteratorI9row_indexNS9_17counting_iteratorImNS9_11use_defaultESD_SD_EESD_SD_EENS9_6detail15normal_iteratorINS9_10device_ptrIiEEEESK_iNS9_4plusIvEENS9_8equal_toIvEEiEE10hipError_tPvRmT2_T3_T4_T5_mT6_T7_P12ihipStream_tbENKUlT_T0_E_clISt17integral_constantIbLb0EES14_IbLb1EEEEDaS10_S11_EUlS10_E_NS1_11comp_targetILNS1_3genE3ELNS1_11target_archE908ELNS1_3gpuE7ELNS1_3repE0EEENS1_30default_config_static_selectorELNS0_4arch9wavefront6targetE0EEEvT1_,comdat
.Lfunc_end40:
	.size	_ZN7rocprim17ROCPRIM_400000_NS6detail17trampoline_kernelINS0_14default_configENS1_27scan_by_key_config_selectorImiEEZZNS1_16scan_by_key_implILNS1_25lookback_scan_determinismE0ELb0ES3_N6thrust23THRUST_200600_302600_NS18transform_iteratorI9row_indexNS9_17counting_iteratorImNS9_11use_defaultESD_SD_EESD_SD_EENS9_6detail15normal_iteratorINS9_10device_ptrIiEEEESK_iNS9_4plusIvEENS9_8equal_toIvEEiEE10hipError_tPvRmT2_T3_T4_T5_mT6_T7_P12ihipStream_tbENKUlT_T0_E_clISt17integral_constantIbLb0EES14_IbLb1EEEEDaS10_S11_EUlS10_E_NS1_11comp_targetILNS1_3genE3ELNS1_11target_archE908ELNS1_3gpuE7ELNS1_3repE0EEENS1_30default_config_static_selectorELNS0_4arch9wavefront6targetE0EEEvT1_, .Lfunc_end40-_ZN7rocprim17ROCPRIM_400000_NS6detail17trampoline_kernelINS0_14default_configENS1_27scan_by_key_config_selectorImiEEZZNS1_16scan_by_key_implILNS1_25lookback_scan_determinismE0ELb0ES3_N6thrust23THRUST_200600_302600_NS18transform_iteratorI9row_indexNS9_17counting_iteratorImNS9_11use_defaultESD_SD_EESD_SD_EENS9_6detail15normal_iteratorINS9_10device_ptrIiEEEESK_iNS9_4plusIvEENS9_8equal_toIvEEiEE10hipError_tPvRmT2_T3_T4_T5_mT6_T7_P12ihipStream_tbENKUlT_T0_E_clISt17integral_constantIbLb0EES14_IbLb1EEEEDaS10_S11_EUlS10_E_NS1_11comp_targetILNS1_3genE3ELNS1_11target_archE908ELNS1_3gpuE7ELNS1_3repE0EEENS1_30default_config_static_selectorELNS0_4arch9wavefront6targetE0EEEvT1_
                                        ; -- End function
	.section	.AMDGPU.csdata,"",@progbits
; Kernel info:
; codeLenInByte = 0
; NumSgprs: 0
; NumVgprs: 0
; ScratchSize: 0
; MemoryBound: 0
; FloatMode: 240
; IeeeMode: 1
; LDSByteSize: 0 bytes/workgroup (compile time only)
; SGPRBlocks: 0
; VGPRBlocks: 0
; NumSGPRsForWavesPerEU: 1
; NumVGPRsForWavesPerEU: 1
; Occupancy: 16
; WaveLimiterHint : 0
; COMPUTE_PGM_RSRC2:SCRATCH_EN: 0
; COMPUTE_PGM_RSRC2:USER_SGPR: 15
; COMPUTE_PGM_RSRC2:TRAP_HANDLER: 0
; COMPUTE_PGM_RSRC2:TGID_X_EN: 1
; COMPUTE_PGM_RSRC2:TGID_Y_EN: 0
; COMPUTE_PGM_RSRC2:TGID_Z_EN: 0
; COMPUTE_PGM_RSRC2:TIDIG_COMP_CNT: 0
	.section	.text._ZN7rocprim17ROCPRIM_400000_NS6detail17trampoline_kernelINS0_14default_configENS1_27scan_by_key_config_selectorImiEEZZNS1_16scan_by_key_implILNS1_25lookback_scan_determinismE0ELb0ES3_N6thrust23THRUST_200600_302600_NS18transform_iteratorI9row_indexNS9_17counting_iteratorImNS9_11use_defaultESD_SD_EESD_SD_EENS9_6detail15normal_iteratorINS9_10device_ptrIiEEEESK_iNS9_4plusIvEENS9_8equal_toIvEEiEE10hipError_tPvRmT2_T3_T4_T5_mT6_T7_P12ihipStream_tbENKUlT_T0_E_clISt17integral_constantIbLb0EES14_IbLb1EEEEDaS10_S11_EUlS10_E_NS1_11comp_targetILNS1_3genE2ELNS1_11target_archE906ELNS1_3gpuE6ELNS1_3repE0EEENS1_30default_config_static_selectorELNS0_4arch9wavefront6targetE0EEEvT1_,"axG",@progbits,_ZN7rocprim17ROCPRIM_400000_NS6detail17trampoline_kernelINS0_14default_configENS1_27scan_by_key_config_selectorImiEEZZNS1_16scan_by_key_implILNS1_25lookback_scan_determinismE0ELb0ES3_N6thrust23THRUST_200600_302600_NS18transform_iteratorI9row_indexNS9_17counting_iteratorImNS9_11use_defaultESD_SD_EESD_SD_EENS9_6detail15normal_iteratorINS9_10device_ptrIiEEEESK_iNS9_4plusIvEENS9_8equal_toIvEEiEE10hipError_tPvRmT2_T3_T4_T5_mT6_T7_P12ihipStream_tbENKUlT_T0_E_clISt17integral_constantIbLb0EES14_IbLb1EEEEDaS10_S11_EUlS10_E_NS1_11comp_targetILNS1_3genE2ELNS1_11target_archE906ELNS1_3gpuE6ELNS1_3repE0EEENS1_30default_config_static_selectorELNS0_4arch9wavefront6targetE0EEEvT1_,comdat
	.protected	_ZN7rocprim17ROCPRIM_400000_NS6detail17trampoline_kernelINS0_14default_configENS1_27scan_by_key_config_selectorImiEEZZNS1_16scan_by_key_implILNS1_25lookback_scan_determinismE0ELb0ES3_N6thrust23THRUST_200600_302600_NS18transform_iteratorI9row_indexNS9_17counting_iteratorImNS9_11use_defaultESD_SD_EESD_SD_EENS9_6detail15normal_iteratorINS9_10device_ptrIiEEEESK_iNS9_4plusIvEENS9_8equal_toIvEEiEE10hipError_tPvRmT2_T3_T4_T5_mT6_T7_P12ihipStream_tbENKUlT_T0_E_clISt17integral_constantIbLb0EES14_IbLb1EEEEDaS10_S11_EUlS10_E_NS1_11comp_targetILNS1_3genE2ELNS1_11target_archE906ELNS1_3gpuE6ELNS1_3repE0EEENS1_30default_config_static_selectorELNS0_4arch9wavefront6targetE0EEEvT1_ ; -- Begin function _ZN7rocprim17ROCPRIM_400000_NS6detail17trampoline_kernelINS0_14default_configENS1_27scan_by_key_config_selectorImiEEZZNS1_16scan_by_key_implILNS1_25lookback_scan_determinismE0ELb0ES3_N6thrust23THRUST_200600_302600_NS18transform_iteratorI9row_indexNS9_17counting_iteratorImNS9_11use_defaultESD_SD_EESD_SD_EENS9_6detail15normal_iteratorINS9_10device_ptrIiEEEESK_iNS9_4plusIvEENS9_8equal_toIvEEiEE10hipError_tPvRmT2_T3_T4_T5_mT6_T7_P12ihipStream_tbENKUlT_T0_E_clISt17integral_constantIbLb0EES14_IbLb1EEEEDaS10_S11_EUlS10_E_NS1_11comp_targetILNS1_3genE2ELNS1_11target_archE906ELNS1_3gpuE6ELNS1_3repE0EEENS1_30default_config_static_selectorELNS0_4arch9wavefront6targetE0EEEvT1_
	.globl	_ZN7rocprim17ROCPRIM_400000_NS6detail17trampoline_kernelINS0_14default_configENS1_27scan_by_key_config_selectorImiEEZZNS1_16scan_by_key_implILNS1_25lookback_scan_determinismE0ELb0ES3_N6thrust23THRUST_200600_302600_NS18transform_iteratorI9row_indexNS9_17counting_iteratorImNS9_11use_defaultESD_SD_EESD_SD_EENS9_6detail15normal_iteratorINS9_10device_ptrIiEEEESK_iNS9_4plusIvEENS9_8equal_toIvEEiEE10hipError_tPvRmT2_T3_T4_T5_mT6_T7_P12ihipStream_tbENKUlT_T0_E_clISt17integral_constantIbLb0EES14_IbLb1EEEEDaS10_S11_EUlS10_E_NS1_11comp_targetILNS1_3genE2ELNS1_11target_archE906ELNS1_3gpuE6ELNS1_3repE0EEENS1_30default_config_static_selectorELNS0_4arch9wavefront6targetE0EEEvT1_
	.p2align	8
	.type	_ZN7rocprim17ROCPRIM_400000_NS6detail17trampoline_kernelINS0_14default_configENS1_27scan_by_key_config_selectorImiEEZZNS1_16scan_by_key_implILNS1_25lookback_scan_determinismE0ELb0ES3_N6thrust23THRUST_200600_302600_NS18transform_iteratorI9row_indexNS9_17counting_iteratorImNS9_11use_defaultESD_SD_EESD_SD_EENS9_6detail15normal_iteratorINS9_10device_ptrIiEEEESK_iNS9_4plusIvEENS9_8equal_toIvEEiEE10hipError_tPvRmT2_T3_T4_T5_mT6_T7_P12ihipStream_tbENKUlT_T0_E_clISt17integral_constantIbLb0EES14_IbLb1EEEEDaS10_S11_EUlS10_E_NS1_11comp_targetILNS1_3genE2ELNS1_11target_archE906ELNS1_3gpuE6ELNS1_3repE0EEENS1_30default_config_static_selectorELNS0_4arch9wavefront6targetE0EEEvT1_,@function
_ZN7rocprim17ROCPRIM_400000_NS6detail17trampoline_kernelINS0_14default_configENS1_27scan_by_key_config_selectorImiEEZZNS1_16scan_by_key_implILNS1_25lookback_scan_determinismE0ELb0ES3_N6thrust23THRUST_200600_302600_NS18transform_iteratorI9row_indexNS9_17counting_iteratorImNS9_11use_defaultESD_SD_EESD_SD_EENS9_6detail15normal_iteratorINS9_10device_ptrIiEEEESK_iNS9_4plusIvEENS9_8equal_toIvEEiEE10hipError_tPvRmT2_T3_T4_T5_mT6_T7_P12ihipStream_tbENKUlT_T0_E_clISt17integral_constantIbLb0EES14_IbLb1EEEEDaS10_S11_EUlS10_E_NS1_11comp_targetILNS1_3genE2ELNS1_11target_archE906ELNS1_3gpuE6ELNS1_3repE0EEENS1_30default_config_static_selectorELNS0_4arch9wavefront6targetE0EEEvT1_: ; @_ZN7rocprim17ROCPRIM_400000_NS6detail17trampoline_kernelINS0_14default_configENS1_27scan_by_key_config_selectorImiEEZZNS1_16scan_by_key_implILNS1_25lookback_scan_determinismE0ELb0ES3_N6thrust23THRUST_200600_302600_NS18transform_iteratorI9row_indexNS9_17counting_iteratorImNS9_11use_defaultESD_SD_EESD_SD_EENS9_6detail15normal_iteratorINS9_10device_ptrIiEEEESK_iNS9_4plusIvEENS9_8equal_toIvEEiEE10hipError_tPvRmT2_T3_T4_T5_mT6_T7_P12ihipStream_tbENKUlT_T0_E_clISt17integral_constantIbLb0EES14_IbLb1EEEEDaS10_S11_EUlS10_E_NS1_11comp_targetILNS1_3genE2ELNS1_11target_archE906ELNS1_3gpuE6ELNS1_3repE0EEENS1_30default_config_static_selectorELNS0_4arch9wavefront6targetE0EEEvT1_
; %bb.0:
	.section	.rodata,"a",@progbits
	.p2align	6, 0x0
	.amdhsa_kernel _ZN7rocprim17ROCPRIM_400000_NS6detail17trampoline_kernelINS0_14default_configENS1_27scan_by_key_config_selectorImiEEZZNS1_16scan_by_key_implILNS1_25lookback_scan_determinismE0ELb0ES3_N6thrust23THRUST_200600_302600_NS18transform_iteratorI9row_indexNS9_17counting_iteratorImNS9_11use_defaultESD_SD_EESD_SD_EENS9_6detail15normal_iteratorINS9_10device_ptrIiEEEESK_iNS9_4plusIvEENS9_8equal_toIvEEiEE10hipError_tPvRmT2_T3_T4_T5_mT6_T7_P12ihipStream_tbENKUlT_T0_E_clISt17integral_constantIbLb0EES14_IbLb1EEEEDaS10_S11_EUlS10_E_NS1_11comp_targetILNS1_3genE2ELNS1_11target_archE906ELNS1_3gpuE6ELNS1_3repE0EEENS1_30default_config_static_selectorELNS0_4arch9wavefront6targetE0EEEvT1_
		.amdhsa_group_segment_fixed_size 0
		.amdhsa_private_segment_fixed_size 0
		.amdhsa_kernarg_size 120
		.amdhsa_user_sgpr_count 15
		.amdhsa_user_sgpr_dispatch_ptr 0
		.amdhsa_user_sgpr_queue_ptr 0
		.amdhsa_user_sgpr_kernarg_segment_ptr 1
		.amdhsa_user_sgpr_dispatch_id 0
		.amdhsa_user_sgpr_private_segment_size 0
		.amdhsa_wavefront_size32 1
		.amdhsa_uses_dynamic_stack 0
		.amdhsa_enable_private_segment 0
		.amdhsa_system_sgpr_workgroup_id_x 1
		.amdhsa_system_sgpr_workgroup_id_y 0
		.amdhsa_system_sgpr_workgroup_id_z 0
		.amdhsa_system_sgpr_workgroup_info 0
		.amdhsa_system_vgpr_workitem_id 0
		.amdhsa_next_free_vgpr 1
		.amdhsa_next_free_sgpr 1
		.amdhsa_reserve_vcc 0
		.amdhsa_float_round_mode_32 0
		.amdhsa_float_round_mode_16_64 0
		.amdhsa_float_denorm_mode_32 3
		.amdhsa_float_denorm_mode_16_64 3
		.amdhsa_dx10_clamp 1
		.amdhsa_ieee_mode 1
		.amdhsa_fp16_overflow 0
		.amdhsa_workgroup_processor_mode 1
		.amdhsa_memory_ordered 1
		.amdhsa_forward_progress 0
		.amdhsa_shared_vgpr_count 0
		.amdhsa_exception_fp_ieee_invalid_op 0
		.amdhsa_exception_fp_denorm_src 0
		.amdhsa_exception_fp_ieee_div_zero 0
		.amdhsa_exception_fp_ieee_overflow 0
		.amdhsa_exception_fp_ieee_underflow 0
		.amdhsa_exception_fp_ieee_inexact 0
		.amdhsa_exception_int_div_zero 0
	.end_amdhsa_kernel
	.section	.text._ZN7rocprim17ROCPRIM_400000_NS6detail17trampoline_kernelINS0_14default_configENS1_27scan_by_key_config_selectorImiEEZZNS1_16scan_by_key_implILNS1_25lookback_scan_determinismE0ELb0ES3_N6thrust23THRUST_200600_302600_NS18transform_iteratorI9row_indexNS9_17counting_iteratorImNS9_11use_defaultESD_SD_EESD_SD_EENS9_6detail15normal_iteratorINS9_10device_ptrIiEEEESK_iNS9_4plusIvEENS9_8equal_toIvEEiEE10hipError_tPvRmT2_T3_T4_T5_mT6_T7_P12ihipStream_tbENKUlT_T0_E_clISt17integral_constantIbLb0EES14_IbLb1EEEEDaS10_S11_EUlS10_E_NS1_11comp_targetILNS1_3genE2ELNS1_11target_archE906ELNS1_3gpuE6ELNS1_3repE0EEENS1_30default_config_static_selectorELNS0_4arch9wavefront6targetE0EEEvT1_,"axG",@progbits,_ZN7rocprim17ROCPRIM_400000_NS6detail17trampoline_kernelINS0_14default_configENS1_27scan_by_key_config_selectorImiEEZZNS1_16scan_by_key_implILNS1_25lookback_scan_determinismE0ELb0ES3_N6thrust23THRUST_200600_302600_NS18transform_iteratorI9row_indexNS9_17counting_iteratorImNS9_11use_defaultESD_SD_EESD_SD_EENS9_6detail15normal_iteratorINS9_10device_ptrIiEEEESK_iNS9_4plusIvEENS9_8equal_toIvEEiEE10hipError_tPvRmT2_T3_T4_T5_mT6_T7_P12ihipStream_tbENKUlT_T0_E_clISt17integral_constantIbLb0EES14_IbLb1EEEEDaS10_S11_EUlS10_E_NS1_11comp_targetILNS1_3genE2ELNS1_11target_archE906ELNS1_3gpuE6ELNS1_3repE0EEENS1_30default_config_static_selectorELNS0_4arch9wavefront6targetE0EEEvT1_,comdat
.Lfunc_end41:
	.size	_ZN7rocprim17ROCPRIM_400000_NS6detail17trampoline_kernelINS0_14default_configENS1_27scan_by_key_config_selectorImiEEZZNS1_16scan_by_key_implILNS1_25lookback_scan_determinismE0ELb0ES3_N6thrust23THRUST_200600_302600_NS18transform_iteratorI9row_indexNS9_17counting_iteratorImNS9_11use_defaultESD_SD_EESD_SD_EENS9_6detail15normal_iteratorINS9_10device_ptrIiEEEESK_iNS9_4plusIvEENS9_8equal_toIvEEiEE10hipError_tPvRmT2_T3_T4_T5_mT6_T7_P12ihipStream_tbENKUlT_T0_E_clISt17integral_constantIbLb0EES14_IbLb1EEEEDaS10_S11_EUlS10_E_NS1_11comp_targetILNS1_3genE2ELNS1_11target_archE906ELNS1_3gpuE6ELNS1_3repE0EEENS1_30default_config_static_selectorELNS0_4arch9wavefront6targetE0EEEvT1_, .Lfunc_end41-_ZN7rocprim17ROCPRIM_400000_NS6detail17trampoline_kernelINS0_14default_configENS1_27scan_by_key_config_selectorImiEEZZNS1_16scan_by_key_implILNS1_25lookback_scan_determinismE0ELb0ES3_N6thrust23THRUST_200600_302600_NS18transform_iteratorI9row_indexNS9_17counting_iteratorImNS9_11use_defaultESD_SD_EESD_SD_EENS9_6detail15normal_iteratorINS9_10device_ptrIiEEEESK_iNS9_4plusIvEENS9_8equal_toIvEEiEE10hipError_tPvRmT2_T3_T4_T5_mT6_T7_P12ihipStream_tbENKUlT_T0_E_clISt17integral_constantIbLb0EES14_IbLb1EEEEDaS10_S11_EUlS10_E_NS1_11comp_targetILNS1_3genE2ELNS1_11target_archE906ELNS1_3gpuE6ELNS1_3repE0EEENS1_30default_config_static_selectorELNS0_4arch9wavefront6targetE0EEEvT1_
                                        ; -- End function
	.section	.AMDGPU.csdata,"",@progbits
; Kernel info:
; codeLenInByte = 0
; NumSgprs: 0
; NumVgprs: 0
; ScratchSize: 0
; MemoryBound: 0
; FloatMode: 240
; IeeeMode: 1
; LDSByteSize: 0 bytes/workgroup (compile time only)
; SGPRBlocks: 0
; VGPRBlocks: 0
; NumSGPRsForWavesPerEU: 1
; NumVGPRsForWavesPerEU: 1
; Occupancy: 16
; WaveLimiterHint : 0
; COMPUTE_PGM_RSRC2:SCRATCH_EN: 0
; COMPUTE_PGM_RSRC2:USER_SGPR: 15
; COMPUTE_PGM_RSRC2:TRAP_HANDLER: 0
; COMPUTE_PGM_RSRC2:TGID_X_EN: 1
; COMPUTE_PGM_RSRC2:TGID_Y_EN: 0
; COMPUTE_PGM_RSRC2:TGID_Z_EN: 0
; COMPUTE_PGM_RSRC2:TIDIG_COMP_CNT: 0
	.section	.text._ZN7rocprim17ROCPRIM_400000_NS6detail17trampoline_kernelINS0_14default_configENS1_27scan_by_key_config_selectorImiEEZZNS1_16scan_by_key_implILNS1_25lookback_scan_determinismE0ELb0ES3_N6thrust23THRUST_200600_302600_NS18transform_iteratorI9row_indexNS9_17counting_iteratorImNS9_11use_defaultESD_SD_EESD_SD_EENS9_6detail15normal_iteratorINS9_10device_ptrIiEEEESK_iNS9_4plusIvEENS9_8equal_toIvEEiEE10hipError_tPvRmT2_T3_T4_T5_mT6_T7_P12ihipStream_tbENKUlT_T0_E_clISt17integral_constantIbLb0EES14_IbLb1EEEEDaS10_S11_EUlS10_E_NS1_11comp_targetILNS1_3genE10ELNS1_11target_archE1200ELNS1_3gpuE4ELNS1_3repE0EEENS1_30default_config_static_selectorELNS0_4arch9wavefront6targetE0EEEvT1_,"axG",@progbits,_ZN7rocprim17ROCPRIM_400000_NS6detail17trampoline_kernelINS0_14default_configENS1_27scan_by_key_config_selectorImiEEZZNS1_16scan_by_key_implILNS1_25lookback_scan_determinismE0ELb0ES3_N6thrust23THRUST_200600_302600_NS18transform_iteratorI9row_indexNS9_17counting_iteratorImNS9_11use_defaultESD_SD_EESD_SD_EENS9_6detail15normal_iteratorINS9_10device_ptrIiEEEESK_iNS9_4plusIvEENS9_8equal_toIvEEiEE10hipError_tPvRmT2_T3_T4_T5_mT6_T7_P12ihipStream_tbENKUlT_T0_E_clISt17integral_constantIbLb0EES14_IbLb1EEEEDaS10_S11_EUlS10_E_NS1_11comp_targetILNS1_3genE10ELNS1_11target_archE1200ELNS1_3gpuE4ELNS1_3repE0EEENS1_30default_config_static_selectorELNS0_4arch9wavefront6targetE0EEEvT1_,comdat
	.protected	_ZN7rocprim17ROCPRIM_400000_NS6detail17trampoline_kernelINS0_14default_configENS1_27scan_by_key_config_selectorImiEEZZNS1_16scan_by_key_implILNS1_25lookback_scan_determinismE0ELb0ES3_N6thrust23THRUST_200600_302600_NS18transform_iteratorI9row_indexNS9_17counting_iteratorImNS9_11use_defaultESD_SD_EESD_SD_EENS9_6detail15normal_iteratorINS9_10device_ptrIiEEEESK_iNS9_4plusIvEENS9_8equal_toIvEEiEE10hipError_tPvRmT2_T3_T4_T5_mT6_T7_P12ihipStream_tbENKUlT_T0_E_clISt17integral_constantIbLb0EES14_IbLb1EEEEDaS10_S11_EUlS10_E_NS1_11comp_targetILNS1_3genE10ELNS1_11target_archE1200ELNS1_3gpuE4ELNS1_3repE0EEENS1_30default_config_static_selectorELNS0_4arch9wavefront6targetE0EEEvT1_ ; -- Begin function _ZN7rocprim17ROCPRIM_400000_NS6detail17trampoline_kernelINS0_14default_configENS1_27scan_by_key_config_selectorImiEEZZNS1_16scan_by_key_implILNS1_25lookback_scan_determinismE0ELb0ES3_N6thrust23THRUST_200600_302600_NS18transform_iteratorI9row_indexNS9_17counting_iteratorImNS9_11use_defaultESD_SD_EESD_SD_EENS9_6detail15normal_iteratorINS9_10device_ptrIiEEEESK_iNS9_4plusIvEENS9_8equal_toIvEEiEE10hipError_tPvRmT2_T3_T4_T5_mT6_T7_P12ihipStream_tbENKUlT_T0_E_clISt17integral_constantIbLb0EES14_IbLb1EEEEDaS10_S11_EUlS10_E_NS1_11comp_targetILNS1_3genE10ELNS1_11target_archE1200ELNS1_3gpuE4ELNS1_3repE0EEENS1_30default_config_static_selectorELNS0_4arch9wavefront6targetE0EEEvT1_
	.globl	_ZN7rocprim17ROCPRIM_400000_NS6detail17trampoline_kernelINS0_14default_configENS1_27scan_by_key_config_selectorImiEEZZNS1_16scan_by_key_implILNS1_25lookback_scan_determinismE0ELb0ES3_N6thrust23THRUST_200600_302600_NS18transform_iteratorI9row_indexNS9_17counting_iteratorImNS9_11use_defaultESD_SD_EESD_SD_EENS9_6detail15normal_iteratorINS9_10device_ptrIiEEEESK_iNS9_4plusIvEENS9_8equal_toIvEEiEE10hipError_tPvRmT2_T3_T4_T5_mT6_T7_P12ihipStream_tbENKUlT_T0_E_clISt17integral_constantIbLb0EES14_IbLb1EEEEDaS10_S11_EUlS10_E_NS1_11comp_targetILNS1_3genE10ELNS1_11target_archE1200ELNS1_3gpuE4ELNS1_3repE0EEENS1_30default_config_static_selectorELNS0_4arch9wavefront6targetE0EEEvT1_
	.p2align	8
	.type	_ZN7rocprim17ROCPRIM_400000_NS6detail17trampoline_kernelINS0_14default_configENS1_27scan_by_key_config_selectorImiEEZZNS1_16scan_by_key_implILNS1_25lookback_scan_determinismE0ELb0ES3_N6thrust23THRUST_200600_302600_NS18transform_iteratorI9row_indexNS9_17counting_iteratorImNS9_11use_defaultESD_SD_EESD_SD_EENS9_6detail15normal_iteratorINS9_10device_ptrIiEEEESK_iNS9_4plusIvEENS9_8equal_toIvEEiEE10hipError_tPvRmT2_T3_T4_T5_mT6_T7_P12ihipStream_tbENKUlT_T0_E_clISt17integral_constantIbLb0EES14_IbLb1EEEEDaS10_S11_EUlS10_E_NS1_11comp_targetILNS1_3genE10ELNS1_11target_archE1200ELNS1_3gpuE4ELNS1_3repE0EEENS1_30default_config_static_selectorELNS0_4arch9wavefront6targetE0EEEvT1_,@function
_ZN7rocprim17ROCPRIM_400000_NS6detail17trampoline_kernelINS0_14default_configENS1_27scan_by_key_config_selectorImiEEZZNS1_16scan_by_key_implILNS1_25lookback_scan_determinismE0ELb0ES3_N6thrust23THRUST_200600_302600_NS18transform_iteratorI9row_indexNS9_17counting_iteratorImNS9_11use_defaultESD_SD_EESD_SD_EENS9_6detail15normal_iteratorINS9_10device_ptrIiEEEESK_iNS9_4plusIvEENS9_8equal_toIvEEiEE10hipError_tPvRmT2_T3_T4_T5_mT6_T7_P12ihipStream_tbENKUlT_T0_E_clISt17integral_constantIbLb0EES14_IbLb1EEEEDaS10_S11_EUlS10_E_NS1_11comp_targetILNS1_3genE10ELNS1_11target_archE1200ELNS1_3gpuE4ELNS1_3repE0EEENS1_30default_config_static_selectorELNS0_4arch9wavefront6targetE0EEEvT1_: ; @_ZN7rocprim17ROCPRIM_400000_NS6detail17trampoline_kernelINS0_14default_configENS1_27scan_by_key_config_selectorImiEEZZNS1_16scan_by_key_implILNS1_25lookback_scan_determinismE0ELb0ES3_N6thrust23THRUST_200600_302600_NS18transform_iteratorI9row_indexNS9_17counting_iteratorImNS9_11use_defaultESD_SD_EESD_SD_EENS9_6detail15normal_iteratorINS9_10device_ptrIiEEEESK_iNS9_4plusIvEENS9_8equal_toIvEEiEE10hipError_tPvRmT2_T3_T4_T5_mT6_T7_P12ihipStream_tbENKUlT_T0_E_clISt17integral_constantIbLb0EES14_IbLb1EEEEDaS10_S11_EUlS10_E_NS1_11comp_targetILNS1_3genE10ELNS1_11target_archE1200ELNS1_3gpuE4ELNS1_3repE0EEENS1_30default_config_static_selectorELNS0_4arch9wavefront6targetE0EEEvT1_
; %bb.0:
	.section	.rodata,"a",@progbits
	.p2align	6, 0x0
	.amdhsa_kernel _ZN7rocprim17ROCPRIM_400000_NS6detail17trampoline_kernelINS0_14default_configENS1_27scan_by_key_config_selectorImiEEZZNS1_16scan_by_key_implILNS1_25lookback_scan_determinismE0ELb0ES3_N6thrust23THRUST_200600_302600_NS18transform_iteratorI9row_indexNS9_17counting_iteratorImNS9_11use_defaultESD_SD_EESD_SD_EENS9_6detail15normal_iteratorINS9_10device_ptrIiEEEESK_iNS9_4plusIvEENS9_8equal_toIvEEiEE10hipError_tPvRmT2_T3_T4_T5_mT6_T7_P12ihipStream_tbENKUlT_T0_E_clISt17integral_constantIbLb0EES14_IbLb1EEEEDaS10_S11_EUlS10_E_NS1_11comp_targetILNS1_3genE10ELNS1_11target_archE1200ELNS1_3gpuE4ELNS1_3repE0EEENS1_30default_config_static_selectorELNS0_4arch9wavefront6targetE0EEEvT1_
		.amdhsa_group_segment_fixed_size 0
		.amdhsa_private_segment_fixed_size 0
		.amdhsa_kernarg_size 120
		.amdhsa_user_sgpr_count 15
		.amdhsa_user_sgpr_dispatch_ptr 0
		.amdhsa_user_sgpr_queue_ptr 0
		.amdhsa_user_sgpr_kernarg_segment_ptr 1
		.amdhsa_user_sgpr_dispatch_id 0
		.amdhsa_user_sgpr_private_segment_size 0
		.amdhsa_wavefront_size32 1
		.amdhsa_uses_dynamic_stack 0
		.amdhsa_enable_private_segment 0
		.amdhsa_system_sgpr_workgroup_id_x 1
		.amdhsa_system_sgpr_workgroup_id_y 0
		.amdhsa_system_sgpr_workgroup_id_z 0
		.amdhsa_system_sgpr_workgroup_info 0
		.amdhsa_system_vgpr_workitem_id 0
		.amdhsa_next_free_vgpr 1
		.amdhsa_next_free_sgpr 1
		.amdhsa_reserve_vcc 0
		.amdhsa_float_round_mode_32 0
		.amdhsa_float_round_mode_16_64 0
		.amdhsa_float_denorm_mode_32 3
		.amdhsa_float_denorm_mode_16_64 3
		.amdhsa_dx10_clamp 1
		.amdhsa_ieee_mode 1
		.amdhsa_fp16_overflow 0
		.amdhsa_workgroup_processor_mode 1
		.amdhsa_memory_ordered 1
		.amdhsa_forward_progress 0
		.amdhsa_shared_vgpr_count 0
		.amdhsa_exception_fp_ieee_invalid_op 0
		.amdhsa_exception_fp_denorm_src 0
		.amdhsa_exception_fp_ieee_div_zero 0
		.amdhsa_exception_fp_ieee_overflow 0
		.amdhsa_exception_fp_ieee_underflow 0
		.amdhsa_exception_fp_ieee_inexact 0
		.amdhsa_exception_int_div_zero 0
	.end_amdhsa_kernel
	.section	.text._ZN7rocprim17ROCPRIM_400000_NS6detail17trampoline_kernelINS0_14default_configENS1_27scan_by_key_config_selectorImiEEZZNS1_16scan_by_key_implILNS1_25lookback_scan_determinismE0ELb0ES3_N6thrust23THRUST_200600_302600_NS18transform_iteratorI9row_indexNS9_17counting_iteratorImNS9_11use_defaultESD_SD_EESD_SD_EENS9_6detail15normal_iteratorINS9_10device_ptrIiEEEESK_iNS9_4plusIvEENS9_8equal_toIvEEiEE10hipError_tPvRmT2_T3_T4_T5_mT6_T7_P12ihipStream_tbENKUlT_T0_E_clISt17integral_constantIbLb0EES14_IbLb1EEEEDaS10_S11_EUlS10_E_NS1_11comp_targetILNS1_3genE10ELNS1_11target_archE1200ELNS1_3gpuE4ELNS1_3repE0EEENS1_30default_config_static_selectorELNS0_4arch9wavefront6targetE0EEEvT1_,"axG",@progbits,_ZN7rocprim17ROCPRIM_400000_NS6detail17trampoline_kernelINS0_14default_configENS1_27scan_by_key_config_selectorImiEEZZNS1_16scan_by_key_implILNS1_25lookback_scan_determinismE0ELb0ES3_N6thrust23THRUST_200600_302600_NS18transform_iteratorI9row_indexNS9_17counting_iteratorImNS9_11use_defaultESD_SD_EESD_SD_EENS9_6detail15normal_iteratorINS9_10device_ptrIiEEEESK_iNS9_4plusIvEENS9_8equal_toIvEEiEE10hipError_tPvRmT2_T3_T4_T5_mT6_T7_P12ihipStream_tbENKUlT_T0_E_clISt17integral_constantIbLb0EES14_IbLb1EEEEDaS10_S11_EUlS10_E_NS1_11comp_targetILNS1_3genE10ELNS1_11target_archE1200ELNS1_3gpuE4ELNS1_3repE0EEENS1_30default_config_static_selectorELNS0_4arch9wavefront6targetE0EEEvT1_,comdat
.Lfunc_end42:
	.size	_ZN7rocprim17ROCPRIM_400000_NS6detail17trampoline_kernelINS0_14default_configENS1_27scan_by_key_config_selectorImiEEZZNS1_16scan_by_key_implILNS1_25lookback_scan_determinismE0ELb0ES3_N6thrust23THRUST_200600_302600_NS18transform_iteratorI9row_indexNS9_17counting_iteratorImNS9_11use_defaultESD_SD_EESD_SD_EENS9_6detail15normal_iteratorINS9_10device_ptrIiEEEESK_iNS9_4plusIvEENS9_8equal_toIvEEiEE10hipError_tPvRmT2_T3_T4_T5_mT6_T7_P12ihipStream_tbENKUlT_T0_E_clISt17integral_constantIbLb0EES14_IbLb1EEEEDaS10_S11_EUlS10_E_NS1_11comp_targetILNS1_3genE10ELNS1_11target_archE1200ELNS1_3gpuE4ELNS1_3repE0EEENS1_30default_config_static_selectorELNS0_4arch9wavefront6targetE0EEEvT1_, .Lfunc_end42-_ZN7rocprim17ROCPRIM_400000_NS6detail17trampoline_kernelINS0_14default_configENS1_27scan_by_key_config_selectorImiEEZZNS1_16scan_by_key_implILNS1_25lookback_scan_determinismE0ELb0ES3_N6thrust23THRUST_200600_302600_NS18transform_iteratorI9row_indexNS9_17counting_iteratorImNS9_11use_defaultESD_SD_EESD_SD_EENS9_6detail15normal_iteratorINS9_10device_ptrIiEEEESK_iNS9_4plusIvEENS9_8equal_toIvEEiEE10hipError_tPvRmT2_T3_T4_T5_mT6_T7_P12ihipStream_tbENKUlT_T0_E_clISt17integral_constantIbLb0EES14_IbLb1EEEEDaS10_S11_EUlS10_E_NS1_11comp_targetILNS1_3genE10ELNS1_11target_archE1200ELNS1_3gpuE4ELNS1_3repE0EEENS1_30default_config_static_selectorELNS0_4arch9wavefront6targetE0EEEvT1_
                                        ; -- End function
	.section	.AMDGPU.csdata,"",@progbits
; Kernel info:
; codeLenInByte = 0
; NumSgprs: 0
; NumVgprs: 0
; ScratchSize: 0
; MemoryBound: 0
; FloatMode: 240
; IeeeMode: 1
; LDSByteSize: 0 bytes/workgroup (compile time only)
; SGPRBlocks: 0
; VGPRBlocks: 0
; NumSGPRsForWavesPerEU: 1
; NumVGPRsForWavesPerEU: 1
; Occupancy: 16
; WaveLimiterHint : 0
; COMPUTE_PGM_RSRC2:SCRATCH_EN: 0
; COMPUTE_PGM_RSRC2:USER_SGPR: 15
; COMPUTE_PGM_RSRC2:TRAP_HANDLER: 0
; COMPUTE_PGM_RSRC2:TGID_X_EN: 1
; COMPUTE_PGM_RSRC2:TGID_Y_EN: 0
; COMPUTE_PGM_RSRC2:TGID_Z_EN: 0
; COMPUTE_PGM_RSRC2:TIDIG_COMP_CNT: 0
	.section	.text._ZN7rocprim17ROCPRIM_400000_NS6detail17trampoline_kernelINS0_14default_configENS1_27scan_by_key_config_selectorImiEEZZNS1_16scan_by_key_implILNS1_25lookback_scan_determinismE0ELb0ES3_N6thrust23THRUST_200600_302600_NS18transform_iteratorI9row_indexNS9_17counting_iteratorImNS9_11use_defaultESD_SD_EESD_SD_EENS9_6detail15normal_iteratorINS9_10device_ptrIiEEEESK_iNS9_4plusIvEENS9_8equal_toIvEEiEE10hipError_tPvRmT2_T3_T4_T5_mT6_T7_P12ihipStream_tbENKUlT_T0_E_clISt17integral_constantIbLb0EES14_IbLb1EEEEDaS10_S11_EUlS10_E_NS1_11comp_targetILNS1_3genE9ELNS1_11target_archE1100ELNS1_3gpuE3ELNS1_3repE0EEENS1_30default_config_static_selectorELNS0_4arch9wavefront6targetE0EEEvT1_,"axG",@progbits,_ZN7rocprim17ROCPRIM_400000_NS6detail17trampoline_kernelINS0_14default_configENS1_27scan_by_key_config_selectorImiEEZZNS1_16scan_by_key_implILNS1_25lookback_scan_determinismE0ELb0ES3_N6thrust23THRUST_200600_302600_NS18transform_iteratorI9row_indexNS9_17counting_iteratorImNS9_11use_defaultESD_SD_EESD_SD_EENS9_6detail15normal_iteratorINS9_10device_ptrIiEEEESK_iNS9_4plusIvEENS9_8equal_toIvEEiEE10hipError_tPvRmT2_T3_T4_T5_mT6_T7_P12ihipStream_tbENKUlT_T0_E_clISt17integral_constantIbLb0EES14_IbLb1EEEEDaS10_S11_EUlS10_E_NS1_11comp_targetILNS1_3genE9ELNS1_11target_archE1100ELNS1_3gpuE3ELNS1_3repE0EEENS1_30default_config_static_selectorELNS0_4arch9wavefront6targetE0EEEvT1_,comdat
	.protected	_ZN7rocprim17ROCPRIM_400000_NS6detail17trampoline_kernelINS0_14default_configENS1_27scan_by_key_config_selectorImiEEZZNS1_16scan_by_key_implILNS1_25lookback_scan_determinismE0ELb0ES3_N6thrust23THRUST_200600_302600_NS18transform_iteratorI9row_indexNS9_17counting_iteratorImNS9_11use_defaultESD_SD_EESD_SD_EENS9_6detail15normal_iteratorINS9_10device_ptrIiEEEESK_iNS9_4plusIvEENS9_8equal_toIvEEiEE10hipError_tPvRmT2_T3_T4_T5_mT6_T7_P12ihipStream_tbENKUlT_T0_E_clISt17integral_constantIbLb0EES14_IbLb1EEEEDaS10_S11_EUlS10_E_NS1_11comp_targetILNS1_3genE9ELNS1_11target_archE1100ELNS1_3gpuE3ELNS1_3repE0EEENS1_30default_config_static_selectorELNS0_4arch9wavefront6targetE0EEEvT1_ ; -- Begin function _ZN7rocprim17ROCPRIM_400000_NS6detail17trampoline_kernelINS0_14default_configENS1_27scan_by_key_config_selectorImiEEZZNS1_16scan_by_key_implILNS1_25lookback_scan_determinismE0ELb0ES3_N6thrust23THRUST_200600_302600_NS18transform_iteratorI9row_indexNS9_17counting_iteratorImNS9_11use_defaultESD_SD_EESD_SD_EENS9_6detail15normal_iteratorINS9_10device_ptrIiEEEESK_iNS9_4plusIvEENS9_8equal_toIvEEiEE10hipError_tPvRmT2_T3_T4_T5_mT6_T7_P12ihipStream_tbENKUlT_T0_E_clISt17integral_constantIbLb0EES14_IbLb1EEEEDaS10_S11_EUlS10_E_NS1_11comp_targetILNS1_3genE9ELNS1_11target_archE1100ELNS1_3gpuE3ELNS1_3repE0EEENS1_30default_config_static_selectorELNS0_4arch9wavefront6targetE0EEEvT1_
	.globl	_ZN7rocprim17ROCPRIM_400000_NS6detail17trampoline_kernelINS0_14default_configENS1_27scan_by_key_config_selectorImiEEZZNS1_16scan_by_key_implILNS1_25lookback_scan_determinismE0ELb0ES3_N6thrust23THRUST_200600_302600_NS18transform_iteratorI9row_indexNS9_17counting_iteratorImNS9_11use_defaultESD_SD_EESD_SD_EENS9_6detail15normal_iteratorINS9_10device_ptrIiEEEESK_iNS9_4plusIvEENS9_8equal_toIvEEiEE10hipError_tPvRmT2_T3_T4_T5_mT6_T7_P12ihipStream_tbENKUlT_T0_E_clISt17integral_constantIbLb0EES14_IbLb1EEEEDaS10_S11_EUlS10_E_NS1_11comp_targetILNS1_3genE9ELNS1_11target_archE1100ELNS1_3gpuE3ELNS1_3repE0EEENS1_30default_config_static_selectorELNS0_4arch9wavefront6targetE0EEEvT1_
	.p2align	8
	.type	_ZN7rocprim17ROCPRIM_400000_NS6detail17trampoline_kernelINS0_14default_configENS1_27scan_by_key_config_selectorImiEEZZNS1_16scan_by_key_implILNS1_25lookback_scan_determinismE0ELb0ES3_N6thrust23THRUST_200600_302600_NS18transform_iteratorI9row_indexNS9_17counting_iteratorImNS9_11use_defaultESD_SD_EESD_SD_EENS9_6detail15normal_iteratorINS9_10device_ptrIiEEEESK_iNS9_4plusIvEENS9_8equal_toIvEEiEE10hipError_tPvRmT2_T3_T4_T5_mT6_T7_P12ihipStream_tbENKUlT_T0_E_clISt17integral_constantIbLb0EES14_IbLb1EEEEDaS10_S11_EUlS10_E_NS1_11comp_targetILNS1_3genE9ELNS1_11target_archE1100ELNS1_3gpuE3ELNS1_3repE0EEENS1_30default_config_static_selectorELNS0_4arch9wavefront6targetE0EEEvT1_,@function
_ZN7rocprim17ROCPRIM_400000_NS6detail17trampoline_kernelINS0_14default_configENS1_27scan_by_key_config_selectorImiEEZZNS1_16scan_by_key_implILNS1_25lookback_scan_determinismE0ELb0ES3_N6thrust23THRUST_200600_302600_NS18transform_iteratorI9row_indexNS9_17counting_iteratorImNS9_11use_defaultESD_SD_EESD_SD_EENS9_6detail15normal_iteratorINS9_10device_ptrIiEEEESK_iNS9_4plusIvEENS9_8equal_toIvEEiEE10hipError_tPvRmT2_T3_T4_T5_mT6_T7_P12ihipStream_tbENKUlT_T0_E_clISt17integral_constantIbLb0EES14_IbLb1EEEEDaS10_S11_EUlS10_E_NS1_11comp_targetILNS1_3genE9ELNS1_11target_archE1100ELNS1_3gpuE3ELNS1_3repE0EEENS1_30default_config_static_selectorELNS0_4arch9wavefront6targetE0EEEvT1_: ; @_ZN7rocprim17ROCPRIM_400000_NS6detail17trampoline_kernelINS0_14default_configENS1_27scan_by_key_config_selectorImiEEZZNS1_16scan_by_key_implILNS1_25lookback_scan_determinismE0ELb0ES3_N6thrust23THRUST_200600_302600_NS18transform_iteratorI9row_indexNS9_17counting_iteratorImNS9_11use_defaultESD_SD_EESD_SD_EENS9_6detail15normal_iteratorINS9_10device_ptrIiEEEESK_iNS9_4plusIvEENS9_8equal_toIvEEiEE10hipError_tPvRmT2_T3_T4_T5_mT6_T7_P12ihipStream_tbENKUlT_T0_E_clISt17integral_constantIbLb0EES14_IbLb1EEEEDaS10_S11_EUlS10_E_NS1_11comp_targetILNS1_3genE9ELNS1_11target_archE1100ELNS1_3gpuE3ELNS1_3repE0EEENS1_30default_config_static_selectorELNS0_4arch9wavefront6targetE0EEEvT1_
; %bb.0:
	s_clause 0x5
	s_load_b256 s[36:43], s[0:1], 0x0
	s_load_b64 s[34:35], s[0:1], 0x20
	s_load_b128 s[28:31], s[0:1], 0x30
	s_load_b64 s[44:45], s[0:1], 0x40
	s_load_b64 s[4:5], s[0:1], 0x70
	s_load_b256 s[20:27], s[0:1], 0x50
	v_cmp_ne_u32_e64 s3, 0, v0
	v_cmp_eq_u32_e64 s2, 0, v0
	s_delay_alu instid0(VALU_DEP_1)
	s_and_saveexec_b32 s6, s2
	s_cbranch_execz .LBB43_4
; %bb.1:
	s_mov_b32 s8, exec_lo
	s_mov_b32 s7, exec_lo
	v_mbcnt_lo_u32_b32 v1, s8, 0
                                        ; implicit-def: $vgpr2
	s_delay_alu instid0(VALU_DEP_1)
	v_cmpx_eq_u32_e32 0, v1
	s_cbranch_execz .LBB43_3
; %bb.2:
	s_bcnt1_i32_b32 s8, s8
	s_delay_alu instid0(SALU_CYCLE_1)
	v_dual_mov_b32 v2, 0 :: v_dual_mov_b32 v3, s8
	s_waitcnt lgkmcnt(0)
	global_atomic_add_u32 v2, v2, v3, s[4:5] glc
.LBB43_3:
	s_or_b32 exec_lo, exec_lo, s7
	s_waitcnt vmcnt(0) lgkmcnt(0)
	v_readfirstlane_b32 s4, v2
	s_delay_alu instid0(VALU_DEP_1)
	v_dual_mov_b32 v2, 0 :: v_dual_add_nc_u32 v1, s4, v1
	ds_store_b32 v2, v1
.LBB43_4:
	s_or_b32 exec_lo, exec_lo, s6
	v_mov_b32_e32 v1, 0
	s_waitcnt lgkmcnt(0)
	s_load_b32 s4, s[0:1], 0x48
	s_waitcnt lgkmcnt(0)
	s_barrier
	buffer_gl0_inv
	ds_load_b32 v1, v1
	s_add_u32 s5, s40, s36
	s_addc_u32 s6, s41, s37
	s_lshl_b64 s[36:37], s[40:41], 2
	s_waitcnt lgkmcnt(0)
	s_add_u32 s7, s42, s36
	s_addc_u32 s8, s43, s37
	s_barrier
	buffer_gl0_inv
	s_barrier
	buffer_gl0_inv
	s_mul_i32 s0, s45, s4
	s_mul_hi_u32 s1, s44, s4
	s_delay_alu instid0(SALU_CYCLE_1) | instskip(SKIP_4) | instid1(VALU_DEP_1)
	s_add_i32 s9, s1, s0
	v_readfirstlane_b32 s31, v1
	s_cmp_lg_u64 s[24:25], 0
	s_mov_b32 s1, 0
	s_cselect_b32 s51, -1, 0
	s_lshl_b32 s0, s31, 12
	s_delay_alu instid0(SALU_CYCLE_1)
	s_add_u32 s40, s5, s0
	s_addc_u32 s41, s6, 0
	s_lshl_b64 s[24:25], s[0:1], 2
	s_mul_i32 s0, s44, s4
	s_add_u32 s33, s7, s24
	s_addc_u32 s50, s8, s25
	s_add_u32 s42, s0, s31
	s_addc_u32 s43, s9, 0
	s_add_u32 s20, s20, -1
	s_addc_u32 s21, s21, -1
	s_delay_alu instid0(SALU_CYCLE_1) | instskip(NEXT) | instid1(VALU_DEP_1)
	v_cmp_ge_u64_e64 s21, s[42:43], s[20:21]
	s_and_b32 vcc_lo, exec_lo, s21
	s_cbranch_vccz .LBB43_107
; %bb.5:
	s_or_b64 s[4:5], s[40:41], s[38:39]
	s_mov_b32 s4, 0
	s_delay_alu instid0(SALU_CYCLE_1)
	s_cmp_lg_u64 s[4:5], 0
	s_cbranch_scc0 .LBB43_108
; %bb.6:
	v_cvt_f32_u32_e32 v1, s38
	v_cvt_f32_u32_e32 v2, s39
	s_sub_u32 s5, 0, s38
	s_subb_u32 s6, 0, s39
	s_delay_alu instid0(VALU_DEP_1) | instskip(NEXT) | instid1(VALU_DEP_1)
	v_fmamk_f32 v1, v2, 0x4f800000, v1
	v_rcp_f32_e32 v1, v1
	s_waitcnt_depctr 0xfff
	v_mul_f32_e32 v1, 0x5f7ffffc, v1
	s_delay_alu instid0(VALU_DEP_1) | instskip(NEXT) | instid1(VALU_DEP_1)
	v_mul_f32_e32 v2, 0x2f800000, v1
	v_trunc_f32_e32 v2, v2
	s_delay_alu instid0(VALU_DEP_1) | instskip(SKIP_1) | instid1(VALU_DEP_2)
	v_fmamk_f32 v1, v2, 0xcf800000, v1
	v_cvt_u32_f32_e32 v2, v2
	v_cvt_u32_f32_e32 v1, v1
	s_delay_alu instid0(VALU_DEP_2) | instskip(NEXT) | instid1(VALU_DEP_2)
	v_readfirstlane_b32 s0, v2
	v_readfirstlane_b32 s1, v1
	s_delay_alu instid0(VALU_DEP_2) | instskip(NEXT) | instid1(VALU_DEP_1)
	s_mul_i32 s7, s5, s0
	s_mul_hi_u32 s9, s5, s1
	s_mul_i32 s8, s6, s1
	s_add_i32 s7, s9, s7
	s_mul_i32 s10, s5, s1
	s_add_i32 s7, s7, s8
	s_mul_hi_u32 s9, s1, s10
	s_mul_hi_u32 s11, s0, s10
	s_mul_i32 s8, s0, s10
	s_mul_hi_u32 s10, s1, s7
	s_mul_i32 s1, s1, s7
	s_mul_hi_u32 s12, s0, s7
	s_add_u32 s1, s9, s1
	s_addc_u32 s9, 0, s10
	s_add_u32 s1, s1, s8
	s_mul_i32 s7, s0, s7
	s_addc_u32 s1, s9, s11
	s_addc_u32 s8, s12, 0
	s_add_u32 s1, s1, s7
	s_addc_u32 s7, 0, s8
	v_add_co_u32 v1, s1, v1, s1
	s_delay_alu instid0(VALU_DEP_1) | instskip(SKIP_1) | instid1(VALU_DEP_1)
	s_cmp_lg_u32 s1, 0
	s_addc_u32 s0, s0, s7
	v_readfirstlane_b32 s1, v1
	s_mul_i32 s7, s5, s0
	s_delay_alu instid0(VALU_DEP_1)
	s_mul_hi_u32 s8, s5, s1
	s_mul_i32 s6, s6, s1
	s_add_i32 s7, s8, s7
	s_mul_i32 s5, s5, s1
	s_add_i32 s7, s7, s6
	s_mul_hi_u32 s8, s0, s5
	s_mul_i32 s9, s0, s5
	s_mul_hi_u32 s5, s1, s5
	s_mul_hi_u32 s10, s1, s7
	s_mul_i32 s1, s1, s7
	s_mul_hi_u32 s6, s0, s7
	s_add_u32 s1, s5, s1
	s_addc_u32 s5, 0, s10
	s_add_u32 s1, s1, s9
	s_mul_i32 s7, s0, s7
	s_addc_u32 s1, s5, s8
	s_addc_u32 s5, s6, 0
	s_add_u32 s1, s1, s7
	s_addc_u32 s5, 0, s5
	v_add_co_u32 v1, s1, v1, s1
	s_delay_alu instid0(VALU_DEP_1) | instskip(SKIP_1) | instid1(VALU_DEP_1)
	s_cmp_lg_u32 s1, 0
	s_addc_u32 s0, s0, s5
	v_readfirstlane_b32 s1, v1
	s_mul_i32 s6, s40, s0
	s_mul_hi_u32 s5, s40, s0
	s_mul_hi_u32 s7, s41, s0
	s_mul_i32 s0, s41, s0
	s_mul_hi_u32 s8, s40, s1
	s_mul_hi_u32 s9, s41, s1
	s_mul_i32 s1, s41, s1
	s_add_u32 s6, s8, s6
	s_addc_u32 s5, 0, s5
	s_add_u32 s1, s6, s1
	s_addc_u32 s1, s5, s9
	s_addc_u32 s5, s7, 0
	s_add_u32 s1, s1, s0
	s_addc_u32 s5, 0, s5
	s_mul_hi_u32 s0, s38, s1
	s_mul_i32 s7, s38, s5
	s_mul_i32 s8, s38, s1
	s_add_i32 s0, s0, s7
	v_sub_co_u32 v1, s7, s40, s8
	s_mul_i32 s6, s39, s1
	s_delay_alu instid0(SALU_CYCLE_1) | instskip(NEXT) | instid1(VALU_DEP_1)
	s_add_i32 s0, s0, s6
	v_sub_co_u32 v2, s8, v1, s38
	s_sub_i32 s6, s41, s0
	s_cmp_lg_u32 s7, 0
	s_subb_u32 s6, s6, s39
	s_cmp_lg_u32 s8, 0
	v_cmp_le_u32_e32 vcc_lo, s38, v2
	s_subb_u32 s6, s6, 0
	s_delay_alu instid0(SALU_CYCLE_1)
	s_cmp_ge_u32 s6, s39
	v_cndmask_b32_e64 v2, 0, -1, vcc_lo
	s_cselect_b32 s8, -1, 0
	s_cmp_eq_u32 s6, s39
	s_cselect_b32 vcc_lo, -1, 0
	s_add_u32 s6, s1, 1
	v_cndmask_b32_e32 v2, s8, v2, vcc_lo
	s_addc_u32 s8, s5, 0
	s_add_u32 s9, s1, 2
	s_addc_u32 s10, s5, 0
	v_mov_b32_e32 v3, s9
	s_cmp_lg_u32 s7, 0
	v_cmp_le_u32_e32 vcc_lo, s38, v1
	s_subb_u32 s0, s41, s0
	s_delay_alu instid0(SALU_CYCLE_1)
	s_cmp_ge_u32 s0, s39
	v_cndmask_b32_e64 v1, 0, -1, vcc_lo
	s_cselect_b32 s7, -1, 0
	s_cmp_eq_u32 s0, s39
	v_cmp_ne_u32_e32 vcc_lo, 0, v2
	s_cselect_b32 s0, -1, 0
	v_mov_b32_e32 v2, s10
	v_cndmask_b32_e64 v1, s7, v1, s0
	v_cndmask_b32_e32 v3, s6, v3, vcc_lo
	s_delay_alu instid0(VALU_DEP_3) | instskip(NEXT) | instid1(VALU_DEP_3)
	v_cndmask_b32_e32 v2, s8, v2, vcc_lo
	v_cmp_ne_u32_e32 vcc_lo, 0, v1
	s_delay_alu instid0(VALU_DEP_2) | instskip(NEXT) | instid1(VALU_DEP_4)
	v_cndmask_b32_e32 v34, s5, v2, vcc_lo
	v_cndmask_b32_e32 v33, s1, v3, vcc_lo
	s_and_not1_b32 vcc_lo, exec_lo, s4
	s_cbranch_vccnz .LBB43_8
.LBB43_7:
	v_cvt_f32_u32_e32 v1, s38
	s_sub_i32 s1, 0, s38
	s_delay_alu instid0(VALU_DEP_1) | instskip(SKIP_2) | instid1(VALU_DEP_1)
	v_rcp_iflag_f32_e32 v1, v1
	s_waitcnt_depctr 0xfff
	v_mul_f32_e32 v1, 0x4f7ffffe, v1
	v_cvt_u32_f32_e32 v1, v1
	s_delay_alu instid0(VALU_DEP_1) | instskip(NEXT) | instid1(VALU_DEP_1)
	v_readfirstlane_b32 s0, v1
	s_mul_i32 s1, s1, s0
	s_delay_alu instid0(SALU_CYCLE_1) | instskip(NEXT) | instid1(SALU_CYCLE_1)
	s_mul_hi_u32 s1, s0, s1
	s_add_i32 s0, s0, s1
	s_delay_alu instid0(SALU_CYCLE_1) | instskip(NEXT) | instid1(SALU_CYCLE_1)
	s_mul_hi_u32 s0, s40, s0
	s_mul_i32 s1, s0, s38
	s_add_i32 s4, s0, 1
	s_sub_i32 s1, s40, s1
	s_delay_alu instid0(SALU_CYCLE_1)
	s_sub_i32 s5, s1, s38
	s_cmp_ge_u32 s1, s38
	s_cselect_b32 s0, s4, s0
	s_cselect_b32 s1, s5, s1
	s_add_i32 s4, s0, 1
	s_cmp_ge_u32 s1, s38
	s_mov_b32 s1, 0
	s_cselect_b32 s0, s4, s0
	s_delay_alu instid0(SALU_CYCLE_1)
	v_dual_mov_b32 v34, s1 :: v_dual_mov_b32 v33, s0
.LBB43_8:
	s_lshl_b32 s0, s20, 12
	s_delay_alu instid0(VALU_DEP_1) | instskip(SKIP_1) | instid1(SALU_CYCLE_1)
	v_dual_mov_b32 v1, v33 :: v_dual_mov_b32 v2, v34
	s_sub_i32 s52, s30, s0
	v_cmp_gt_u32_e64 s0, s52, v0
	s_delay_alu instid0(VALU_DEP_1)
	s_and_saveexec_b32 s4, s0
	s_cbranch_execz .LBB43_14
; %bb.9:
	v_add_co_u32 v3, s1, s40, v0
	s_delay_alu instid0(VALU_DEP_1) | instskip(SKIP_1) | instid1(VALU_DEP_2)
	v_add_co_ci_u32_e64 v4, null, s41, 0, s1
	v_mov_b32_e32 v1, 0
	v_or_b32_e32 v2, s39, v4
	s_delay_alu instid0(VALU_DEP_1) | instskip(SKIP_1) | instid1(SALU_CYCLE_1)
	v_cmp_ne_u64_e32 vcc_lo, 0, v[1:2]
                                        ; implicit-def: $vgpr1_vgpr2
	s_and_saveexec_b32 s1, vcc_lo
	s_xor_b32 s5, exec_lo, s1
	s_cbranch_execz .LBB43_11
; %bb.10:
	v_cvt_f32_u32_e32 v1, s38
	v_cvt_f32_u32_e32 v2, s39
	s_sub_u32 s1, 0, s38
	s_subb_u32 s6, 0, s39
	s_delay_alu instid0(VALU_DEP_1) | instskip(NEXT) | instid1(VALU_DEP_1)
	v_fmamk_f32 v1, v2, 0x4f800000, v1
	v_rcp_f32_e32 v1, v1
	s_waitcnt_depctr 0xfff
	v_mul_f32_e32 v1, 0x5f7ffffc, v1
	s_delay_alu instid0(VALU_DEP_1) | instskip(NEXT) | instid1(VALU_DEP_1)
	v_mul_f32_e32 v2, 0x2f800000, v1
	v_trunc_f32_e32 v2, v2
	s_delay_alu instid0(VALU_DEP_1) | instskip(SKIP_1) | instid1(VALU_DEP_2)
	v_fmamk_f32 v1, v2, 0xcf800000, v1
	v_cvt_u32_f32_e32 v2, v2
	v_cvt_u32_f32_e32 v1, v1
	s_delay_alu instid0(VALU_DEP_2) | instskip(NEXT) | instid1(VALU_DEP_2)
	v_mul_lo_u32 v5, s1, v2
	v_mul_hi_u32 v6, s1, v1
	v_mul_lo_u32 v7, s6, v1
	s_delay_alu instid0(VALU_DEP_2) | instskip(SKIP_1) | instid1(VALU_DEP_2)
	v_add_nc_u32_e32 v5, v6, v5
	v_mul_lo_u32 v6, s1, v1
	v_add_nc_u32_e32 v5, v5, v7
	s_delay_alu instid0(VALU_DEP_2) | instskip(NEXT) | instid1(VALU_DEP_2)
	v_mul_hi_u32 v7, v1, v6
	v_mul_lo_u32 v8, v1, v5
	v_mul_hi_u32 v9, v1, v5
	v_mul_hi_u32 v10, v2, v6
	v_mul_lo_u32 v6, v2, v6
	v_mul_hi_u32 v11, v2, v5
	v_mul_lo_u32 v5, v2, v5
	v_add_co_u32 v7, vcc_lo, v7, v8
	v_add_co_ci_u32_e32 v8, vcc_lo, 0, v9, vcc_lo
	s_delay_alu instid0(VALU_DEP_2) | instskip(NEXT) | instid1(VALU_DEP_2)
	v_add_co_u32 v6, vcc_lo, v7, v6
	v_add_co_ci_u32_e32 v6, vcc_lo, v8, v10, vcc_lo
	v_add_co_ci_u32_e32 v7, vcc_lo, 0, v11, vcc_lo
	s_delay_alu instid0(VALU_DEP_2) | instskip(NEXT) | instid1(VALU_DEP_2)
	v_add_co_u32 v5, vcc_lo, v6, v5
	v_add_co_ci_u32_e32 v6, vcc_lo, 0, v7, vcc_lo
	s_delay_alu instid0(VALU_DEP_2) | instskip(NEXT) | instid1(VALU_DEP_2)
	v_add_co_u32 v1, vcc_lo, v1, v5
	v_add_co_ci_u32_e32 v2, vcc_lo, v2, v6, vcc_lo
	s_delay_alu instid0(VALU_DEP_2) | instskip(SKIP_1) | instid1(VALU_DEP_3)
	v_mul_hi_u32 v5, s1, v1
	v_mul_lo_u32 v7, s6, v1
	v_mul_lo_u32 v6, s1, v2
	s_delay_alu instid0(VALU_DEP_1) | instskip(SKIP_1) | instid1(VALU_DEP_2)
	v_add_nc_u32_e32 v5, v5, v6
	v_mul_lo_u32 v6, s1, v1
	v_add_nc_u32_e32 v5, v5, v7
	s_delay_alu instid0(VALU_DEP_2) | instskip(NEXT) | instid1(VALU_DEP_2)
	v_mul_hi_u32 v7, v1, v6
	v_mul_lo_u32 v8, v1, v5
	v_mul_hi_u32 v9, v1, v5
	v_mul_hi_u32 v10, v2, v6
	v_mul_lo_u32 v6, v2, v6
	v_mul_hi_u32 v11, v2, v5
	v_mul_lo_u32 v5, v2, v5
	v_add_co_u32 v7, vcc_lo, v7, v8
	v_add_co_ci_u32_e32 v8, vcc_lo, 0, v9, vcc_lo
	s_delay_alu instid0(VALU_DEP_2) | instskip(NEXT) | instid1(VALU_DEP_2)
	v_add_co_u32 v6, vcc_lo, v7, v6
	v_add_co_ci_u32_e32 v6, vcc_lo, v8, v10, vcc_lo
	v_add_co_ci_u32_e32 v7, vcc_lo, 0, v11, vcc_lo
	s_delay_alu instid0(VALU_DEP_2) | instskip(NEXT) | instid1(VALU_DEP_2)
	v_add_co_u32 v5, vcc_lo, v6, v5
	v_add_co_ci_u32_e32 v6, vcc_lo, 0, v7, vcc_lo
	s_delay_alu instid0(VALU_DEP_2) | instskip(NEXT) | instid1(VALU_DEP_2)
	v_add_co_u32 v7, vcc_lo, v1, v5
	v_add_co_ci_u32_e32 v9, vcc_lo, v2, v6, vcc_lo
	s_delay_alu instid0(VALU_DEP_2) | instskip(SKIP_1) | instid1(VALU_DEP_3)
	v_mul_hi_u32 v10, v3, v7
	v_mad_u64_u32 v[5:6], null, v4, v7, 0
	v_mad_u64_u32 v[1:2], null, v3, v9, 0
	;; [unrolled: 1-line block ×3, first 2 shown]
	s_delay_alu instid0(VALU_DEP_2) | instskip(NEXT) | instid1(VALU_DEP_3)
	v_add_co_u32 v1, vcc_lo, v10, v1
	v_add_co_ci_u32_e32 v2, vcc_lo, 0, v2, vcc_lo
	s_delay_alu instid0(VALU_DEP_2) | instskip(NEXT) | instid1(VALU_DEP_2)
	v_add_co_u32 v1, vcc_lo, v1, v5
	v_add_co_ci_u32_e32 v1, vcc_lo, v2, v6, vcc_lo
	v_add_co_ci_u32_e32 v2, vcc_lo, 0, v8, vcc_lo
	s_delay_alu instid0(VALU_DEP_2) | instskip(NEXT) | instid1(VALU_DEP_2)
	v_add_co_u32 v5, vcc_lo, v1, v7
	v_add_co_ci_u32_e32 v6, vcc_lo, 0, v2, vcc_lo
	s_delay_alu instid0(VALU_DEP_2) | instskip(SKIP_1) | instid1(VALU_DEP_3)
	v_mul_lo_u32 v7, s39, v5
	v_mad_u64_u32 v[1:2], null, s38, v5, 0
	v_mul_lo_u32 v8, s38, v6
	s_delay_alu instid0(VALU_DEP_2) | instskip(NEXT) | instid1(VALU_DEP_2)
	v_sub_co_u32 v1, vcc_lo, v3, v1
	v_add3_u32 v2, v2, v8, v7
	s_delay_alu instid0(VALU_DEP_1) | instskip(NEXT) | instid1(VALU_DEP_1)
	v_sub_nc_u32_e32 v7, v4, v2
	v_subrev_co_ci_u32_e64 v3, s1, s39, v7, vcc_lo
	v_add_co_u32 v7, s1, v5, 2
	s_delay_alu instid0(VALU_DEP_1) | instskip(SKIP_3) | instid1(VALU_DEP_3)
	v_add_co_ci_u32_e64 v8, s1, 0, v6, s1
	v_sub_co_u32 v9, s1, v1, s38
	v_sub_co_ci_u32_e32 v2, vcc_lo, v4, v2, vcc_lo
	v_subrev_co_ci_u32_e64 v3, s1, 0, v3, s1
	v_cmp_le_u32_e32 vcc_lo, s38, v9
	s_delay_alu instid0(VALU_DEP_3) | instskip(SKIP_1) | instid1(VALU_DEP_4)
	v_cmp_eq_u32_e64 s1, s39, v2
	v_cndmask_b32_e64 v4, 0, -1, vcc_lo
	v_cmp_le_u32_e32 vcc_lo, s39, v3
	v_cndmask_b32_e64 v9, 0, -1, vcc_lo
	v_cmp_le_u32_e32 vcc_lo, s38, v1
	;; [unrolled: 2-line block ×3, first 2 shown]
	v_cndmask_b32_e64 v10, 0, -1, vcc_lo
	v_cmp_eq_u32_e32 vcc_lo, s39, v3
	s_delay_alu instid0(VALU_DEP_2) | instskip(SKIP_3) | instid1(VALU_DEP_3)
	v_cndmask_b32_e64 v1, v10, v1, s1
	v_cndmask_b32_e32 v3, v9, v4, vcc_lo
	v_add_co_u32 v4, vcc_lo, v5, 1
	v_add_co_ci_u32_e32 v9, vcc_lo, 0, v6, vcc_lo
	v_cmp_ne_u32_e32 vcc_lo, 0, v3
	s_delay_alu instid0(VALU_DEP_2) | instskip(SKIP_1) | instid1(VALU_DEP_2)
	v_dual_cndmask_b32 v2, v9, v8 :: v_dual_cndmask_b32 v3, v4, v7
	v_cmp_ne_u32_e32 vcc_lo, 0, v1
	v_dual_cndmask_b32 v2, v6, v2 :: v_dual_cndmask_b32 v1, v5, v3
                                        ; implicit-def: $vgpr3
.LBB43_11:
	s_and_not1_saveexec_b32 s1, s5
	s_cbranch_execz .LBB43_13
; %bb.12:
	v_cvt_f32_u32_e32 v1, s38
	s_sub_i32 s5, 0, s38
	s_delay_alu instid0(VALU_DEP_1) | instskip(SKIP_2) | instid1(VALU_DEP_1)
	v_rcp_iflag_f32_e32 v1, v1
	s_waitcnt_depctr 0xfff
	v_mul_f32_e32 v1, 0x4f7ffffe, v1
	v_cvt_u32_f32_e32 v1, v1
	s_delay_alu instid0(VALU_DEP_1) | instskip(NEXT) | instid1(VALU_DEP_1)
	v_mul_lo_u32 v2, s5, v1
	v_mul_hi_u32 v2, v1, v2
	s_delay_alu instid0(VALU_DEP_1) | instskip(NEXT) | instid1(VALU_DEP_1)
	v_add_nc_u32_e32 v1, v1, v2
	v_mul_hi_u32 v1, v3, v1
	s_delay_alu instid0(VALU_DEP_1) | instskip(NEXT) | instid1(VALU_DEP_1)
	v_mul_lo_u32 v2, v1, s38
	v_sub_nc_u32_e32 v2, v3, v2
	v_add_nc_u32_e32 v3, 1, v1
	s_delay_alu instid0(VALU_DEP_2) | instskip(SKIP_1) | instid1(VALU_DEP_2)
	v_subrev_nc_u32_e32 v4, s38, v2
	v_cmp_le_u32_e32 vcc_lo, s38, v2
	v_dual_cndmask_b32 v2, v2, v4 :: v_dual_cndmask_b32 v1, v1, v3
	s_delay_alu instid0(VALU_DEP_1) | instskip(NEXT) | instid1(VALU_DEP_2)
	v_cmp_le_u32_e32 vcc_lo, s38, v2
	v_dual_mov_b32 v2, 0 :: v_dual_add_nc_u32 v3, 1, v1
	s_delay_alu instid0(VALU_DEP_1)
	v_cndmask_b32_e32 v1, v1, v3, vcc_lo
.LBB43_13:
	s_or_b32 exec_lo, exec_lo, s1
.LBB43_14:
	s_delay_alu instid0(SALU_CYCLE_1) | instskip(SKIP_2) | instid1(VALU_DEP_2)
	s_or_b32 exec_lo, exec_lo, s4
	v_or_b32_e32 v35, 0x100, v0
	v_dual_mov_b32 v3, v33 :: v_dual_mov_b32 v4, v34
	v_cmp_gt_u32_e64 s1, s52, v35
	s_delay_alu instid0(VALU_DEP_1)
	s_and_saveexec_b32 s5, s1
	s_cbranch_execz .LBB43_20
; %bb.15:
	v_add_co_u32 v5, s4, s40, v35
	s_delay_alu instid0(VALU_DEP_1) | instskip(SKIP_1) | instid1(VALU_DEP_2)
	v_add_co_ci_u32_e64 v6, null, s41, 0, s4
	v_mov_b32_e32 v3, 0
	v_or_b32_e32 v4, s39, v6
	s_delay_alu instid0(VALU_DEP_1) | instskip(SKIP_1) | instid1(SALU_CYCLE_1)
	v_cmp_ne_u64_e32 vcc_lo, 0, v[3:4]
                                        ; implicit-def: $vgpr3_vgpr4
	s_and_saveexec_b32 s4, vcc_lo
	s_xor_b32 s6, exec_lo, s4
	s_cbranch_execz .LBB43_17
; %bb.16:
	v_cvt_f32_u32_e32 v3, s38
	v_cvt_f32_u32_e32 v4, s39
	s_sub_u32 s4, 0, s38
	s_subb_u32 s7, 0, s39
	s_delay_alu instid0(VALU_DEP_1) | instskip(NEXT) | instid1(VALU_DEP_1)
	v_fmamk_f32 v3, v4, 0x4f800000, v3
	v_rcp_f32_e32 v3, v3
	s_waitcnt_depctr 0xfff
	v_mul_f32_e32 v3, 0x5f7ffffc, v3
	s_delay_alu instid0(VALU_DEP_1) | instskip(NEXT) | instid1(VALU_DEP_1)
	v_mul_f32_e32 v4, 0x2f800000, v3
	v_trunc_f32_e32 v4, v4
	s_delay_alu instid0(VALU_DEP_1) | instskip(SKIP_1) | instid1(VALU_DEP_2)
	v_fmamk_f32 v3, v4, 0xcf800000, v3
	v_cvt_u32_f32_e32 v4, v4
	v_cvt_u32_f32_e32 v3, v3
	s_delay_alu instid0(VALU_DEP_2) | instskip(NEXT) | instid1(VALU_DEP_2)
	v_mul_lo_u32 v7, s4, v4
	v_mul_hi_u32 v8, s4, v3
	v_mul_lo_u32 v9, s7, v3
	s_delay_alu instid0(VALU_DEP_2) | instskip(SKIP_1) | instid1(VALU_DEP_2)
	v_add_nc_u32_e32 v7, v8, v7
	v_mul_lo_u32 v8, s4, v3
	v_add_nc_u32_e32 v7, v7, v9
	s_delay_alu instid0(VALU_DEP_2) | instskip(NEXT) | instid1(VALU_DEP_2)
	v_mul_hi_u32 v9, v3, v8
	v_mul_lo_u32 v10, v3, v7
	v_mul_hi_u32 v11, v3, v7
	v_mul_hi_u32 v12, v4, v8
	v_mul_lo_u32 v8, v4, v8
	v_mul_hi_u32 v13, v4, v7
	v_mul_lo_u32 v7, v4, v7
	v_add_co_u32 v9, vcc_lo, v9, v10
	v_add_co_ci_u32_e32 v10, vcc_lo, 0, v11, vcc_lo
	s_delay_alu instid0(VALU_DEP_2) | instskip(NEXT) | instid1(VALU_DEP_2)
	v_add_co_u32 v8, vcc_lo, v9, v8
	v_add_co_ci_u32_e32 v8, vcc_lo, v10, v12, vcc_lo
	v_add_co_ci_u32_e32 v9, vcc_lo, 0, v13, vcc_lo
	s_delay_alu instid0(VALU_DEP_2) | instskip(NEXT) | instid1(VALU_DEP_2)
	v_add_co_u32 v7, vcc_lo, v8, v7
	v_add_co_ci_u32_e32 v8, vcc_lo, 0, v9, vcc_lo
	s_delay_alu instid0(VALU_DEP_2) | instskip(NEXT) | instid1(VALU_DEP_2)
	v_add_co_u32 v3, vcc_lo, v3, v7
	v_add_co_ci_u32_e32 v4, vcc_lo, v4, v8, vcc_lo
	s_delay_alu instid0(VALU_DEP_2) | instskip(SKIP_1) | instid1(VALU_DEP_3)
	v_mul_hi_u32 v7, s4, v3
	v_mul_lo_u32 v9, s7, v3
	v_mul_lo_u32 v8, s4, v4
	s_delay_alu instid0(VALU_DEP_1) | instskip(SKIP_1) | instid1(VALU_DEP_2)
	v_add_nc_u32_e32 v7, v7, v8
	v_mul_lo_u32 v8, s4, v3
	v_add_nc_u32_e32 v7, v7, v9
	s_delay_alu instid0(VALU_DEP_2) | instskip(NEXT) | instid1(VALU_DEP_2)
	v_mul_hi_u32 v9, v3, v8
	v_mul_lo_u32 v10, v3, v7
	v_mul_hi_u32 v11, v3, v7
	v_mul_hi_u32 v12, v4, v8
	v_mul_lo_u32 v8, v4, v8
	v_mul_hi_u32 v13, v4, v7
	v_mul_lo_u32 v7, v4, v7
	v_add_co_u32 v9, vcc_lo, v9, v10
	v_add_co_ci_u32_e32 v10, vcc_lo, 0, v11, vcc_lo
	s_delay_alu instid0(VALU_DEP_2) | instskip(NEXT) | instid1(VALU_DEP_2)
	v_add_co_u32 v8, vcc_lo, v9, v8
	v_add_co_ci_u32_e32 v8, vcc_lo, v10, v12, vcc_lo
	v_add_co_ci_u32_e32 v9, vcc_lo, 0, v13, vcc_lo
	s_delay_alu instid0(VALU_DEP_2) | instskip(NEXT) | instid1(VALU_DEP_2)
	v_add_co_u32 v7, vcc_lo, v8, v7
	v_add_co_ci_u32_e32 v8, vcc_lo, 0, v9, vcc_lo
	s_delay_alu instid0(VALU_DEP_2) | instskip(NEXT) | instid1(VALU_DEP_2)
	v_add_co_u32 v9, vcc_lo, v3, v7
	v_add_co_ci_u32_e32 v11, vcc_lo, v4, v8, vcc_lo
	s_delay_alu instid0(VALU_DEP_2) | instskip(SKIP_1) | instid1(VALU_DEP_3)
	v_mul_hi_u32 v12, v5, v9
	v_mad_u64_u32 v[7:8], null, v6, v9, 0
	v_mad_u64_u32 v[3:4], null, v5, v11, 0
	;; [unrolled: 1-line block ×3, first 2 shown]
	s_delay_alu instid0(VALU_DEP_2) | instskip(NEXT) | instid1(VALU_DEP_3)
	v_add_co_u32 v3, vcc_lo, v12, v3
	v_add_co_ci_u32_e32 v4, vcc_lo, 0, v4, vcc_lo
	s_delay_alu instid0(VALU_DEP_2) | instskip(NEXT) | instid1(VALU_DEP_2)
	v_add_co_u32 v3, vcc_lo, v3, v7
	v_add_co_ci_u32_e32 v3, vcc_lo, v4, v8, vcc_lo
	v_add_co_ci_u32_e32 v4, vcc_lo, 0, v10, vcc_lo
	s_delay_alu instid0(VALU_DEP_2) | instskip(NEXT) | instid1(VALU_DEP_2)
	v_add_co_u32 v7, vcc_lo, v3, v9
	v_add_co_ci_u32_e32 v8, vcc_lo, 0, v4, vcc_lo
	s_delay_alu instid0(VALU_DEP_2) | instskip(SKIP_1) | instid1(VALU_DEP_3)
	v_mul_lo_u32 v9, s39, v7
	v_mad_u64_u32 v[3:4], null, s38, v7, 0
	v_mul_lo_u32 v10, s38, v8
	s_delay_alu instid0(VALU_DEP_2) | instskip(NEXT) | instid1(VALU_DEP_2)
	v_sub_co_u32 v3, vcc_lo, v5, v3
	v_add3_u32 v4, v4, v10, v9
	s_delay_alu instid0(VALU_DEP_1) | instskip(NEXT) | instid1(VALU_DEP_1)
	v_sub_nc_u32_e32 v9, v6, v4
	v_subrev_co_ci_u32_e64 v5, s4, s39, v9, vcc_lo
	v_add_co_u32 v9, s4, v7, 2
	s_delay_alu instid0(VALU_DEP_1) | instskip(SKIP_3) | instid1(VALU_DEP_3)
	v_add_co_ci_u32_e64 v10, s4, 0, v8, s4
	v_sub_co_u32 v11, s4, v3, s38
	v_sub_co_ci_u32_e32 v4, vcc_lo, v6, v4, vcc_lo
	v_subrev_co_ci_u32_e64 v5, s4, 0, v5, s4
	v_cmp_le_u32_e32 vcc_lo, s38, v11
	s_delay_alu instid0(VALU_DEP_3) | instskip(SKIP_1) | instid1(VALU_DEP_4)
	v_cmp_eq_u32_e64 s4, s39, v4
	v_cndmask_b32_e64 v6, 0, -1, vcc_lo
	v_cmp_le_u32_e32 vcc_lo, s39, v5
	v_cndmask_b32_e64 v11, 0, -1, vcc_lo
	v_cmp_le_u32_e32 vcc_lo, s38, v3
	;; [unrolled: 2-line block ×3, first 2 shown]
	v_cndmask_b32_e64 v12, 0, -1, vcc_lo
	v_cmp_eq_u32_e32 vcc_lo, s39, v5
	s_delay_alu instid0(VALU_DEP_2) | instskip(SKIP_3) | instid1(VALU_DEP_3)
	v_cndmask_b32_e64 v3, v12, v3, s4
	v_cndmask_b32_e32 v5, v11, v6, vcc_lo
	v_add_co_u32 v6, vcc_lo, v7, 1
	v_add_co_ci_u32_e32 v11, vcc_lo, 0, v8, vcc_lo
	v_cmp_ne_u32_e32 vcc_lo, 0, v5
	s_delay_alu instid0(VALU_DEP_2) | instskip(SKIP_1) | instid1(VALU_DEP_2)
	v_dual_cndmask_b32 v4, v11, v10 :: v_dual_cndmask_b32 v5, v6, v9
	v_cmp_ne_u32_e32 vcc_lo, 0, v3
	v_dual_cndmask_b32 v4, v8, v4 :: v_dual_cndmask_b32 v3, v7, v5
                                        ; implicit-def: $vgpr5
.LBB43_17:
	s_and_not1_saveexec_b32 s4, s6
	s_cbranch_execz .LBB43_19
; %bb.18:
	v_cvt_f32_u32_e32 v3, s38
	s_sub_i32 s6, 0, s38
	s_delay_alu instid0(VALU_DEP_1) | instskip(SKIP_2) | instid1(VALU_DEP_1)
	v_rcp_iflag_f32_e32 v3, v3
	s_waitcnt_depctr 0xfff
	v_mul_f32_e32 v3, 0x4f7ffffe, v3
	v_cvt_u32_f32_e32 v3, v3
	s_delay_alu instid0(VALU_DEP_1) | instskip(NEXT) | instid1(VALU_DEP_1)
	v_mul_lo_u32 v4, s6, v3
	v_mul_hi_u32 v4, v3, v4
	s_delay_alu instid0(VALU_DEP_1) | instskip(NEXT) | instid1(VALU_DEP_1)
	v_add_nc_u32_e32 v3, v3, v4
	v_mul_hi_u32 v3, v5, v3
	s_delay_alu instid0(VALU_DEP_1) | instskip(NEXT) | instid1(VALU_DEP_1)
	v_mul_lo_u32 v4, v3, s38
	v_sub_nc_u32_e32 v4, v5, v4
	v_add_nc_u32_e32 v5, 1, v3
	s_delay_alu instid0(VALU_DEP_2) | instskip(SKIP_1) | instid1(VALU_DEP_2)
	v_subrev_nc_u32_e32 v6, s38, v4
	v_cmp_le_u32_e32 vcc_lo, s38, v4
	v_dual_cndmask_b32 v4, v4, v6 :: v_dual_cndmask_b32 v3, v3, v5
	s_delay_alu instid0(VALU_DEP_1) | instskip(NEXT) | instid1(VALU_DEP_2)
	v_cmp_le_u32_e32 vcc_lo, s38, v4
	v_dual_mov_b32 v4, 0 :: v_dual_add_nc_u32 v5, 1, v3
	s_delay_alu instid0(VALU_DEP_1)
	v_cndmask_b32_e32 v3, v3, v5, vcc_lo
.LBB43_19:
	s_or_b32 exec_lo, exec_lo, s4
.LBB43_20:
	s_delay_alu instid0(SALU_CYCLE_1) | instskip(SKIP_2) | instid1(VALU_DEP_2)
	s_or_b32 exec_lo, exec_lo, s5
	v_or_b32_e32 v37, 0x200, v0
	v_dual_mov_b32 v5, v33 :: v_dual_mov_b32 v6, v34
	v_cmp_gt_u32_e64 s4, s52, v37
	s_delay_alu instid0(VALU_DEP_1)
	s_and_saveexec_b32 s6, s4
	s_cbranch_execz .LBB43_26
; %bb.21:
	v_add_co_u32 v7, s5, s40, v37
	s_delay_alu instid0(VALU_DEP_1) | instskip(SKIP_1) | instid1(VALU_DEP_2)
	v_add_co_ci_u32_e64 v8, null, s41, 0, s5
	v_mov_b32_e32 v5, 0
	v_or_b32_e32 v6, s39, v8
	s_delay_alu instid0(VALU_DEP_1) | instskip(SKIP_1) | instid1(SALU_CYCLE_1)
	v_cmp_ne_u64_e32 vcc_lo, 0, v[5:6]
                                        ; implicit-def: $vgpr5_vgpr6
	s_and_saveexec_b32 s5, vcc_lo
	s_xor_b32 s7, exec_lo, s5
	s_cbranch_execz .LBB43_23
; %bb.22:
	v_cvt_f32_u32_e32 v5, s38
	v_cvt_f32_u32_e32 v6, s39
	s_sub_u32 s5, 0, s38
	s_subb_u32 s8, 0, s39
	s_delay_alu instid0(VALU_DEP_1) | instskip(NEXT) | instid1(VALU_DEP_1)
	v_fmamk_f32 v5, v6, 0x4f800000, v5
	v_rcp_f32_e32 v5, v5
	s_waitcnt_depctr 0xfff
	v_mul_f32_e32 v5, 0x5f7ffffc, v5
	s_delay_alu instid0(VALU_DEP_1) | instskip(NEXT) | instid1(VALU_DEP_1)
	v_mul_f32_e32 v6, 0x2f800000, v5
	v_trunc_f32_e32 v6, v6
	s_delay_alu instid0(VALU_DEP_1) | instskip(SKIP_1) | instid1(VALU_DEP_2)
	v_fmamk_f32 v5, v6, 0xcf800000, v5
	v_cvt_u32_f32_e32 v6, v6
	v_cvt_u32_f32_e32 v5, v5
	s_delay_alu instid0(VALU_DEP_2) | instskip(NEXT) | instid1(VALU_DEP_2)
	v_mul_lo_u32 v9, s5, v6
	v_mul_hi_u32 v10, s5, v5
	v_mul_lo_u32 v11, s8, v5
	s_delay_alu instid0(VALU_DEP_2) | instskip(SKIP_1) | instid1(VALU_DEP_2)
	v_add_nc_u32_e32 v9, v10, v9
	v_mul_lo_u32 v10, s5, v5
	v_add_nc_u32_e32 v9, v9, v11
	s_delay_alu instid0(VALU_DEP_2) | instskip(NEXT) | instid1(VALU_DEP_2)
	v_mul_hi_u32 v11, v5, v10
	v_mul_lo_u32 v12, v5, v9
	v_mul_hi_u32 v13, v5, v9
	v_mul_hi_u32 v14, v6, v10
	v_mul_lo_u32 v10, v6, v10
	v_mul_hi_u32 v15, v6, v9
	v_mul_lo_u32 v9, v6, v9
	v_add_co_u32 v11, vcc_lo, v11, v12
	v_add_co_ci_u32_e32 v12, vcc_lo, 0, v13, vcc_lo
	s_delay_alu instid0(VALU_DEP_2) | instskip(NEXT) | instid1(VALU_DEP_2)
	v_add_co_u32 v10, vcc_lo, v11, v10
	v_add_co_ci_u32_e32 v10, vcc_lo, v12, v14, vcc_lo
	v_add_co_ci_u32_e32 v11, vcc_lo, 0, v15, vcc_lo
	s_delay_alu instid0(VALU_DEP_2) | instskip(NEXT) | instid1(VALU_DEP_2)
	v_add_co_u32 v9, vcc_lo, v10, v9
	v_add_co_ci_u32_e32 v10, vcc_lo, 0, v11, vcc_lo
	s_delay_alu instid0(VALU_DEP_2) | instskip(NEXT) | instid1(VALU_DEP_2)
	v_add_co_u32 v5, vcc_lo, v5, v9
	v_add_co_ci_u32_e32 v6, vcc_lo, v6, v10, vcc_lo
	s_delay_alu instid0(VALU_DEP_2) | instskip(SKIP_1) | instid1(VALU_DEP_3)
	v_mul_hi_u32 v9, s5, v5
	v_mul_lo_u32 v11, s8, v5
	v_mul_lo_u32 v10, s5, v6
	s_delay_alu instid0(VALU_DEP_1) | instskip(SKIP_1) | instid1(VALU_DEP_2)
	v_add_nc_u32_e32 v9, v9, v10
	v_mul_lo_u32 v10, s5, v5
	v_add_nc_u32_e32 v9, v9, v11
	s_delay_alu instid0(VALU_DEP_2) | instskip(NEXT) | instid1(VALU_DEP_2)
	v_mul_hi_u32 v11, v5, v10
	v_mul_lo_u32 v12, v5, v9
	v_mul_hi_u32 v13, v5, v9
	v_mul_hi_u32 v14, v6, v10
	v_mul_lo_u32 v10, v6, v10
	v_mul_hi_u32 v15, v6, v9
	v_mul_lo_u32 v9, v6, v9
	v_add_co_u32 v11, vcc_lo, v11, v12
	v_add_co_ci_u32_e32 v12, vcc_lo, 0, v13, vcc_lo
	s_delay_alu instid0(VALU_DEP_2) | instskip(NEXT) | instid1(VALU_DEP_2)
	v_add_co_u32 v10, vcc_lo, v11, v10
	v_add_co_ci_u32_e32 v10, vcc_lo, v12, v14, vcc_lo
	v_add_co_ci_u32_e32 v11, vcc_lo, 0, v15, vcc_lo
	s_delay_alu instid0(VALU_DEP_2) | instskip(NEXT) | instid1(VALU_DEP_2)
	v_add_co_u32 v9, vcc_lo, v10, v9
	v_add_co_ci_u32_e32 v10, vcc_lo, 0, v11, vcc_lo
	s_delay_alu instid0(VALU_DEP_2) | instskip(NEXT) | instid1(VALU_DEP_2)
	v_add_co_u32 v11, vcc_lo, v5, v9
	v_add_co_ci_u32_e32 v13, vcc_lo, v6, v10, vcc_lo
	s_delay_alu instid0(VALU_DEP_2) | instskip(SKIP_1) | instid1(VALU_DEP_3)
	v_mul_hi_u32 v14, v7, v11
	v_mad_u64_u32 v[9:10], null, v8, v11, 0
	v_mad_u64_u32 v[5:6], null, v7, v13, 0
	;; [unrolled: 1-line block ×3, first 2 shown]
	s_delay_alu instid0(VALU_DEP_2) | instskip(NEXT) | instid1(VALU_DEP_3)
	v_add_co_u32 v5, vcc_lo, v14, v5
	v_add_co_ci_u32_e32 v6, vcc_lo, 0, v6, vcc_lo
	s_delay_alu instid0(VALU_DEP_2) | instskip(NEXT) | instid1(VALU_DEP_2)
	v_add_co_u32 v5, vcc_lo, v5, v9
	v_add_co_ci_u32_e32 v5, vcc_lo, v6, v10, vcc_lo
	v_add_co_ci_u32_e32 v6, vcc_lo, 0, v12, vcc_lo
	s_delay_alu instid0(VALU_DEP_2) | instskip(NEXT) | instid1(VALU_DEP_2)
	v_add_co_u32 v9, vcc_lo, v5, v11
	v_add_co_ci_u32_e32 v10, vcc_lo, 0, v6, vcc_lo
	s_delay_alu instid0(VALU_DEP_2) | instskip(SKIP_1) | instid1(VALU_DEP_3)
	v_mul_lo_u32 v11, s39, v9
	v_mad_u64_u32 v[5:6], null, s38, v9, 0
	v_mul_lo_u32 v12, s38, v10
	s_delay_alu instid0(VALU_DEP_2) | instskip(NEXT) | instid1(VALU_DEP_2)
	v_sub_co_u32 v5, vcc_lo, v7, v5
	v_add3_u32 v6, v6, v12, v11
	s_delay_alu instid0(VALU_DEP_1) | instskip(NEXT) | instid1(VALU_DEP_1)
	v_sub_nc_u32_e32 v11, v8, v6
	v_subrev_co_ci_u32_e64 v7, s5, s39, v11, vcc_lo
	v_add_co_u32 v11, s5, v9, 2
	s_delay_alu instid0(VALU_DEP_1) | instskip(SKIP_3) | instid1(VALU_DEP_3)
	v_add_co_ci_u32_e64 v12, s5, 0, v10, s5
	v_sub_co_u32 v13, s5, v5, s38
	v_sub_co_ci_u32_e32 v6, vcc_lo, v8, v6, vcc_lo
	v_subrev_co_ci_u32_e64 v7, s5, 0, v7, s5
	v_cmp_le_u32_e32 vcc_lo, s38, v13
	s_delay_alu instid0(VALU_DEP_3) | instskip(SKIP_1) | instid1(VALU_DEP_4)
	v_cmp_eq_u32_e64 s5, s39, v6
	v_cndmask_b32_e64 v8, 0, -1, vcc_lo
	v_cmp_le_u32_e32 vcc_lo, s39, v7
	v_cndmask_b32_e64 v13, 0, -1, vcc_lo
	v_cmp_le_u32_e32 vcc_lo, s38, v5
	;; [unrolled: 2-line block ×3, first 2 shown]
	v_cndmask_b32_e64 v14, 0, -1, vcc_lo
	v_cmp_eq_u32_e32 vcc_lo, s39, v7
	s_delay_alu instid0(VALU_DEP_2) | instskip(SKIP_3) | instid1(VALU_DEP_3)
	v_cndmask_b32_e64 v5, v14, v5, s5
	v_cndmask_b32_e32 v7, v13, v8, vcc_lo
	v_add_co_u32 v8, vcc_lo, v9, 1
	v_add_co_ci_u32_e32 v13, vcc_lo, 0, v10, vcc_lo
	v_cmp_ne_u32_e32 vcc_lo, 0, v7
	s_delay_alu instid0(VALU_DEP_2) | instskip(SKIP_1) | instid1(VALU_DEP_2)
	v_dual_cndmask_b32 v6, v13, v12 :: v_dual_cndmask_b32 v7, v8, v11
	v_cmp_ne_u32_e32 vcc_lo, 0, v5
	v_dual_cndmask_b32 v6, v10, v6 :: v_dual_cndmask_b32 v5, v9, v7
                                        ; implicit-def: $vgpr7
.LBB43_23:
	s_and_not1_saveexec_b32 s5, s7
	s_cbranch_execz .LBB43_25
; %bb.24:
	v_cvt_f32_u32_e32 v5, s38
	s_sub_i32 s7, 0, s38
	s_delay_alu instid0(VALU_DEP_1) | instskip(SKIP_2) | instid1(VALU_DEP_1)
	v_rcp_iflag_f32_e32 v5, v5
	s_waitcnt_depctr 0xfff
	v_mul_f32_e32 v5, 0x4f7ffffe, v5
	v_cvt_u32_f32_e32 v5, v5
	s_delay_alu instid0(VALU_DEP_1) | instskip(NEXT) | instid1(VALU_DEP_1)
	v_mul_lo_u32 v6, s7, v5
	v_mul_hi_u32 v6, v5, v6
	s_delay_alu instid0(VALU_DEP_1) | instskip(NEXT) | instid1(VALU_DEP_1)
	v_add_nc_u32_e32 v5, v5, v6
	v_mul_hi_u32 v5, v7, v5
	s_delay_alu instid0(VALU_DEP_1) | instskip(NEXT) | instid1(VALU_DEP_1)
	v_mul_lo_u32 v6, v5, s38
	v_sub_nc_u32_e32 v6, v7, v6
	v_add_nc_u32_e32 v7, 1, v5
	s_delay_alu instid0(VALU_DEP_2) | instskip(SKIP_1) | instid1(VALU_DEP_2)
	v_subrev_nc_u32_e32 v8, s38, v6
	v_cmp_le_u32_e32 vcc_lo, s38, v6
	v_dual_cndmask_b32 v6, v6, v8 :: v_dual_cndmask_b32 v5, v5, v7
	s_delay_alu instid0(VALU_DEP_1) | instskip(NEXT) | instid1(VALU_DEP_2)
	v_cmp_le_u32_e32 vcc_lo, s38, v6
	v_dual_mov_b32 v6, 0 :: v_dual_add_nc_u32 v7, 1, v5
	s_delay_alu instid0(VALU_DEP_1)
	v_cndmask_b32_e32 v5, v5, v7, vcc_lo
.LBB43_25:
	s_or_b32 exec_lo, exec_lo, s5
.LBB43_26:
	s_delay_alu instid0(SALU_CYCLE_1) | instskip(SKIP_2) | instid1(VALU_DEP_2)
	s_or_b32 exec_lo, exec_lo, s6
	v_or_b32_e32 v39, 0x300, v0
	v_dual_mov_b32 v7, v33 :: v_dual_mov_b32 v8, v34
	v_cmp_gt_u32_e64 s5, s52, v39
	s_delay_alu instid0(VALU_DEP_1)
	s_and_saveexec_b32 s7, s5
	s_cbranch_execz .LBB43_32
; %bb.27:
	v_add_co_u32 v9, s6, s40, v39
	s_delay_alu instid0(VALU_DEP_1) | instskip(SKIP_1) | instid1(VALU_DEP_2)
	v_add_co_ci_u32_e64 v10, null, s41, 0, s6
	v_mov_b32_e32 v7, 0
	v_or_b32_e32 v8, s39, v10
	s_delay_alu instid0(VALU_DEP_1) | instskip(SKIP_1) | instid1(SALU_CYCLE_1)
	v_cmp_ne_u64_e32 vcc_lo, 0, v[7:8]
                                        ; implicit-def: $vgpr7_vgpr8
	s_and_saveexec_b32 s6, vcc_lo
	s_xor_b32 s8, exec_lo, s6
	s_cbranch_execz .LBB43_29
; %bb.28:
	v_cvt_f32_u32_e32 v7, s38
	v_cvt_f32_u32_e32 v8, s39
	s_sub_u32 s6, 0, s38
	s_subb_u32 s9, 0, s39
	s_delay_alu instid0(VALU_DEP_1) | instskip(NEXT) | instid1(VALU_DEP_1)
	v_fmamk_f32 v7, v8, 0x4f800000, v7
	v_rcp_f32_e32 v7, v7
	s_waitcnt_depctr 0xfff
	v_mul_f32_e32 v7, 0x5f7ffffc, v7
	s_delay_alu instid0(VALU_DEP_1) | instskip(NEXT) | instid1(VALU_DEP_1)
	v_mul_f32_e32 v8, 0x2f800000, v7
	v_trunc_f32_e32 v8, v8
	s_delay_alu instid0(VALU_DEP_1) | instskip(SKIP_1) | instid1(VALU_DEP_2)
	v_fmamk_f32 v7, v8, 0xcf800000, v7
	v_cvt_u32_f32_e32 v8, v8
	v_cvt_u32_f32_e32 v7, v7
	s_delay_alu instid0(VALU_DEP_2) | instskip(NEXT) | instid1(VALU_DEP_2)
	v_mul_lo_u32 v11, s6, v8
	v_mul_hi_u32 v12, s6, v7
	v_mul_lo_u32 v13, s9, v7
	s_delay_alu instid0(VALU_DEP_2) | instskip(SKIP_1) | instid1(VALU_DEP_2)
	v_add_nc_u32_e32 v11, v12, v11
	v_mul_lo_u32 v12, s6, v7
	v_add_nc_u32_e32 v11, v11, v13
	s_delay_alu instid0(VALU_DEP_2) | instskip(NEXT) | instid1(VALU_DEP_2)
	v_mul_hi_u32 v13, v7, v12
	v_mul_lo_u32 v14, v7, v11
	v_mul_hi_u32 v15, v7, v11
	v_mul_hi_u32 v16, v8, v12
	v_mul_lo_u32 v12, v8, v12
	v_mul_hi_u32 v17, v8, v11
	v_mul_lo_u32 v11, v8, v11
	v_add_co_u32 v13, vcc_lo, v13, v14
	v_add_co_ci_u32_e32 v14, vcc_lo, 0, v15, vcc_lo
	s_delay_alu instid0(VALU_DEP_2) | instskip(NEXT) | instid1(VALU_DEP_2)
	v_add_co_u32 v12, vcc_lo, v13, v12
	v_add_co_ci_u32_e32 v12, vcc_lo, v14, v16, vcc_lo
	v_add_co_ci_u32_e32 v13, vcc_lo, 0, v17, vcc_lo
	s_delay_alu instid0(VALU_DEP_2) | instskip(NEXT) | instid1(VALU_DEP_2)
	v_add_co_u32 v11, vcc_lo, v12, v11
	v_add_co_ci_u32_e32 v12, vcc_lo, 0, v13, vcc_lo
	s_delay_alu instid0(VALU_DEP_2) | instskip(NEXT) | instid1(VALU_DEP_2)
	v_add_co_u32 v7, vcc_lo, v7, v11
	v_add_co_ci_u32_e32 v8, vcc_lo, v8, v12, vcc_lo
	s_delay_alu instid0(VALU_DEP_2) | instskip(SKIP_1) | instid1(VALU_DEP_3)
	v_mul_hi_u32 v11, s6, v7
	v_mul_lo_u32 v13, s9, v7
	v_mul_lo_u32 v12, s6, v8
	s_delay_alu instid0(VALU_DEP_1) | instskip(SKIP_1) | instid1(VALU_DEP_2)
	v_add_nc_u32_e32 v11, v11, v12
	v_mul_lo_u32 v12, s6, v7
	v_add_nc_u32_e32 v11, v11, v13
	s_delay_alu instid0(VALU_DEP_2) | instskip(NEXT) | instid1(VALU_DEP_2)
	v_mul_hi_u32 v13, v7, v12
	v_mul_lo_u32 v14, v7, v11
	v_mul_hi_u32 v15, v7, v11
	v_mul_hi_u32 v16, v8, v12
	v_mul_lo_u32 v12, v8, v12
	v_mul_hi_u32 v17, v8, v11
	v_mul_lo_u32 v11, v8, v11
	v_add_co_u32 v13, vcc_lo, v13, v14
	v_add_co_ci_u32_e32 v14, vcc_lo, 0, v15, vcc_lo
	s_delay_alu instid0(VALU_DEP_2) | instskip(NEXT) | instid1(VALU_DEP_2)
	v_add_co_u32 v12, vcc_lo, v13, v12
	v_add_co_ci_u32_e32 v12, vcc_lo, v14, v16, vcc_lo
	v_add_co_ci_u32_e32 v13, vcc_lo, 0, v17, vcc_lo
	s_delay_alu instid0(VALU_DEP_2) | instskip(NEXT) | instid1(VALU_DEP_2)
	v_add_co_u32 v11, vcc_lo, v12, v11
	v_add_co_ci_u32_e32 v12, vcc_lo, 0, v13, vcc_lo
	s_delay_alu instid0(VALU_DEP_2) | instskip(NEXT) | instid1(VALU_DEP_2)
	v_add_co_u32 v13, vcc_lo, v7, v11
	v_add_co_ci_u32_e32 v15, vcc_lo, v8, v12, vcc_lo
	s_delay_alu instid0(VALU_DEP_2) | instskip(SKIP_1) | instid1(VALU_DEP_3)
	v_mul_hi_u32 v16, v9, v13
	v_mad_u64_u32 v[11:12], null, v10, v13, 0
	v_mad_u64_u32 v[7:8], null, v9, v15, 0
	;; [unrolled: 1-line block ×3, first 2 shown]
	s_delay_alu instid0(VALU_DEP_2) | instskip(NEXT) | instid1(VALU_DEP_3)
	v_add_co_u32 v7, vcc_lo, v16, v7
	v_add_co_ci_u32_e32 v8, vcc_lo, 0, v8, vcc_lo
	s_delay_alu instid0(VALU_DEP_2) | instskip(NEXT) | instid1(VALU_DEP_2)
	v_add_co_u32 v7, vcc_lo, v7, v11
	v_add_co_ci_u32_e32 v7, vcc_lo, v8, v12, vcc_lo
	v_add_co_ci_u32_e32 v8, vcc_lo, 0, v14, vcc_lo
	s_delay_alu instid0(VALU_DEP_2) | instskip(NEXT) | instid1(VALU_DEP_2)
	v_add_co_u32 v11, vcc_lo, v7, v13
	v_add_co_ci_u32_e32 v12, vcc_lo, 0, v8, vcc_lo
	s_delay_alu instid0(VALU_DEP_2) | instskip(SKIP_1) | instid1(VALU_DEP_3)
	v_mul_lo_u32 v13, s39, v11
	v_mad_u64_u32 v[7:8], null, s38, v11, 0
	v_mul_lo_u32 v14, s38, v12
	s_delay_alu instid0(VALU_DEP_2) | instskip(NEXT) | instid1(VALU_DEP_2)
	v_sub_co_u32 v7, vcc_lo, v9, v7
	v_add3_u32 v8, v8, v14, v13
	s_delay_alu instid0(VALU_DEP_1) | instskip(NEXT) | instid1(VALU_DEP_1)
	v_sub_nc_u32_e32 v13, v10, v8
	v_subrev_co_ci_u32_e64 v9, s6, s39, v13, vcc_lo
	v_add_co_u32 v13, s6, v11, 2
	s_delay_alu instid0(VALU_DEP_1) | instskip(SKIP_3) | instid1(VALU_DEP_3)
	v_add_co_ci_u32_e64 v14, s6, 0, v12, s6
	v_sub_co_u32 v15, s6, v7, s38
	v_sub_co_ci_u32_e32 v8, vcc_lo, v10, v8, vcc_lo
	v_subrev_co_ci_u32_e64 v9, s6, 0, v9, s6
	v_cmp_le_u32_e32 vcc_lo, s38, v15
	s_delay_alu instid0(VALU_DEP_3) | instskip(SKIP_1) | instid1(VALU_DEP_4)
	v_cmp_eq_u32_e64 s6, s39, v8
	v_cndmask_b32_e64 v10, 0, -1, vcc_lo
	v_cmp_le_u32_e32 vcc_lo, s39, v9
	v_cndmask_b32_e64 v15, 0, -1, vcc_lo
	v_cmp_le_u32_e32 vcc_lo, s38, v7
	;; [unrolled: 2-line block ×3, first 2 shown]
	v_cndmask_b32_e64 v16, 0, -1, vcc_lo
	v_cmp_eq_u32_e32 vcc_lo, s39, v9
	s_delay_alu instid0(VALU_DEP_2) | instskip(SKIP_3) | instid1(VALU_DEP_3)
	v_cndmask_b32_e64 v7, v16, v7, s6
	v_cndmask_b32_e32 v9, v15, v10, vcc_lo
	v_add_co_u32 v10, vcc_lo, v11, 1
	v_add_co_ci_u32_e32 v15, vcc_lo, 0, v12, vcc_lo
	v_cmp_ne_u32_e32 vcc_lo, 0, v9
	s_delay_alu instid0(VALU_DEP_2) | instskip(SKIP_1) | instid1(VALU_DEP_2)
	v_dual_cndmask_b32 v8, v15, v14 :: v_dual_cndmask_b32 v9, v10, v13
	v_cmp_ne_u32_e32 vcc_lo, 0, v7
	v_dual_cndmask_b32 v8, v12, v8 :: v_dual_cndmask_b32 v7, v11, v9
                                        ; implicit-def: $vgpr9
.LBB43_29:
	s_and_not1_saveexec_b32 s6, s8
	s_cbranch_execz .LBB43_31
; %bb.30:
	v_cvt_f32_u32_e32 v7, s38
	s_sub_i32 s8, 0, s38
	s_delay_alu instid0(VALU_DEP_1) | instskip(SKIP_2) | instid1(VALU_DEP_1)
	v_rcp_iflag_f32_e32 v7, v7
	s_waitcnt_depctr 0xfff
	v_mul_f32_e32 v7, 0x4f7ffffe, v7
	v_cvt_u32_f32_e32 v7, v7
	s_delay_alu instid0(VALU_DEP_1) | instskip(NEXT) | instid1(VALU_DEP_1)
	v_mul_lo_u32 v8, s8, v7
	v_mul_hi_u32 v8, v7, v8
	s_delay_alu instid0(VALU_DEP_1) | instskip(NEXT) | instid1(VALU_DEP_1)
	v_add_nc_u32_e32 v7, v7, v8
	v_mul_hi_u32 v7, v9, v7
	s_delay_alu instid0(VALU_DEP_1) | instskip(NEXT) | instid1(VALU_DEP_1)
	v_mul_lo_u32 v8, v7, s38
	v_sub_nc_u32_e32 v8, v9, v8
	v_add_nc_u32_e32 v9, 1, v7
	s_delay_alu instid0(VALU_DEP_2) | instskip(SKIP_1) | instid1(VALU_DEP_2)
	v_subrev_nc_u32_e32 v10, s38, v8
	v_cmp_le_u32_e32 vcc_lo, s38, v8
	v_dual_cndmask_b32 v8, v8, v10 :: v_dual_cndmask_b32 v7, v7, v9
	s_delay_alu instid0(VALU_DEP_1) | instskip(NEXT) | instid1(VALU_DEP_2)
	v_cmp_le_u32_e32 vcc_lo, s38, v8
	v_dual_mov_b32 v8, 0 :: v_dual_add_nc_u32 v9, 1, v7
	s_delay_alu instid0(VALU_DEP_1)
	v_cndmask_b32_e32 v7, v7, v9, vcc_lo
.LBB43_31:
	s_or_b32 exec_lo, exec_lo, s6
.LBB43_32:
	s_delay_alu instid0(SALU_CYCLE_1) | instskip(SKIP_2) | instid1(VALU_DEP_2)
	s_or_b32 exec_lo, exec_lo, s7
	v_or_b32_e32 v36, 0x400, v0
	v_dual_mov_b32 v9, v33 :: v_dual_mov_b32 v10, v34
	v_cmp_gt_u32_e64 s6, s52, v36
	s_delay_alu instid0(VALU_DEP_1)
	s_and_saveexec_b32 s8, s6
	s_cbranch_execz .LBB43_38
; %bb.33:
	v_add_co_u32 v11, s7, s40, v36
	s_delay_alu instid0(VALU_DEP_1) | instskip(SKIP_1) | instid1(VALU_DEP_2)
	v_add_co_ci_u32_e64 v12, null, s41, 0, s7
	v_mov_b32_e32 v9, 0
	v_or_b32_e32 v10, s39, v12
	s_delay_alu instid0(VALU_DEP_1) | instskip(SKIP_1) | instid1(SALU_CYCLE_1)
	v_cmp_ne_u64_e32 vcc_lo, 0, v[9:10]
                                        ; implicit-def: $vgpr9_vgpr10
	s_and_saveexec_b32 s7, vcc_lo
	s_xor_b32 s9, exec_lo, s7
	s_cbranch_execz .LBB43_35
; %bb.34:
	v_cvt_f32_u32_e32 v9, s38
	v_cvt_f32_u32_e32 v10, s39
	s_sub_u32 s7, 0, s38
	s_subb_u32 s10, 0, s39
	s_delay_alu instid0(VALU_DEP_1) | instskip(NEXT) | instid1(VALU_DEP_1)
	v_fmamk_f32 v9, v10, 0x4f800000, v9
	v_rcp_f32_e32 v9, v9
	s_waitcnt_depctr 0xfff
	v_mul_f32_e32 v9, 0x5f7ffffc, v9
	s_delay_alu instid0(VALU_DEP_1) | instskip(NEXT) | instid1(VALU_DEP_1)
	v_mul_f32_e32 v10, 0x2f800000, v9
	v_trunc_f32_e32 v10, v10
	s_delay_alu instid0(VALU_DEP_1) | instskip(SKIP_1) | instid1(VALU_DEP_2)
	v_fmamk_f32 v9, v10, 0xcf800000, v9
	v_cvt_u32_f32_e32 v10, v10
	v_cvt_u32_f32_e32 v9, v9
	s_delay_alu instid0(VALU_DEP_2) | instskip(NEXT) | instid1(VALU_DEP_2)
	v_mul_lo_u32 v13, s7, v10
	v_mul_hi_u32 v14, s7, v9
	v_mul_lo_u32 v15, s10, v9
	s_delay_alu instid0(VALU_DEP_2) | instskip(SKIP_1) | instid1(VALU_DEP_2)
	v_add_nc_u32_e32 v13, v14, v13
	v_mul_lo_u32 v14, s7, v9
	v_add_nc_u32_e32 v13, v13, v15
	s_delay_alu instid0(VALU_DEP_2) | instskip(NEXT) | instid1(VALU_DEP_2)
	v_mul_hi_u32 v15, v9, v14
	v_mul_lo_u32 v16, v9, v13
	v_mul_hi_u32 v17, v9, v13
	v_mul_hi_u32 v18, v10, v14
	v_mul_lo_u32 v14, v10, v14
	v_mul_hi_u32 v19, v10, v13
	v_mul_lo_u32 v13, v10, v13
	v_add_co_u32 v15, vcc_lo, v15, v16
	v_add_co_ci_u32_e32 v16, vcc_lo, 0, v17, vcc_lo
	s_delay_alu instid0(VALU_DEP_2) | instskip(NEXT) | instid1(VALU_DEP_2)
	v_add_co_u32 v14, vcc_lo, v15, v14
	v_add_co_ci_u32_e32 v14, vcc_lo, v16, v18, vcc_lo
	v_add_co_ci_u32_e32 v15, vcc_lo, 0, v19, vcc_lo
	s_delay_alu instid0(VALU_DEP_2) | instskip(NEXT) | instid1(VALU_DEP_2)
	v_add_co_u32 v13, vcc_lo, v14, v13
	v_add_co_ci_u32_e32 v14, vcc_lo, 0, v15, vcc_lo
	s_delay_alu instid0(VALU_DEP_2) | instskip(NEXT) | instid1(VALU_DEP_2)
	v_add_co_u32 v9, vcc_lo, v9, v13
	v_add_co_ci_u32_e32 v10, vcc_lo, v10, v14, vcc_lo
	s_delay_alu instid0(VALU_DEP_2) | instskip(SKIP_1) | instid1(VALU_DEP_3)
	v_mul_hi_u32 v13, s7, v9
	v_mul_lo_u32 v15, s10, v9
	v_mul_lo_u32 v14, s7, v10
	s_delay_alu instid0(VALU_DEP_1) | instskip(SKIP_1) | instid1(VALU_DEP_2)
	v_add_nc_u32_e32 v13, v13, v14
	v_mul_lo_u32 v14, s7, v9
	v_add_nc_u32_e32 v13, v13, v15
	s_delay_alu instid0(VALU_DEP_2) | instskip(NEXT) | instid1(VALU_DEP_2)
	v_mul_hi_u32 v15, v9, v14
	v_mul_lo_u32 v16, v9, v13
	v_mul_hi_u32 v17, v9, v13
	v_mul_hi_u32 v18, v10, v14
	v_mul_lo_u32 v14, v10, v14
	v_mul_hi_u32 v19, v10, v13
	v_mul_lo_u32 v13, v10, v13
	v_add_co_u32 v15, vcc_lo, v15, v16
	v_add_co_ci_u32_e32 v16, vcc_lo, 0, v17, vcc_lo
	s_delay_alu instid0(VALU_DEP_2) | instskip(NEXT) | instid1(VALU_DEP_2)
	v_add_co_u32 v14, vcc_lo, v15, v14
	v_add_co_ci_u32_e32 v14, vcc_lo, v16, v18, vcc_lo
	v_add_co_ci_u32_e32 v15, vcc_lo, 0, v19, vcc_lo
	s_delay_alu instid0(VALU_DEP_2) | instskip(NEXT) | instid1(VALU_DEP_2)
	v_add_co_u32 v13, vcc_lo, v14, v13
	v_add_co_ci_u32_e32 v14, vcc_lo, 0, v15, vcc_lo
	s_delay_alu instid0(VALU_DEP_2) | instskip(NEXT) | instid1(VALU_DEP_2)
	v_add_co_u32 v15, vcc_lo, v9, v13
	v_add_co_ci_u32_e32 v17, vcc_lo, v10, v14, vcc_lo
	s_delay_alu instid0(VALU_DEP_2) | instskip(SKIP_1) | instid1(VALU_DEP_3)
	v_mul_hi_u32 v18, v11, v15
	v_mad_u64_u32 v[13:14], null, v12, v15, 0
	v_mad_u64_u32 v[9:10], null, v11, v17, 0
	;; [unrolled: 1-line block ×3, first 2 shown]
	s_delay_alu instid0(VALU_DEP_2) | instskip(NEXT) | instid1(VALU_DEP_3)
	v_add_co_u32 v9, vcc_lo, v18, v9
	v_add_co_ci_u32_e32 v10, vcc_lo, 0, v10, vcc_lo
	s_delay_alu instid0(VALU_DEP_2) | instskip(NEXT) | instid1(VALU_DEP_2)
	v_add_co_u32 v9, vcc_lo, v9, v13
	v_add_co_ci_u32_e32 v9, vcc_lo, v10, v14, vcc_lo
	v_add_co_ci_u32_e32 v10, vcc_lo, 0, v16, vcc_lo
	s_delay_alu instid0(VALU_DEP_2) | instskip(NEXT) | instid1(VALU_DEP_2)
	v_add_co_u32 v13, vcc_lo, v9, v15
	v_add_co_ci_u32_e32 v14, vcc_lo, 0, v10, vcc_lo
	s_delay_alu instid0(VALU_DEP_2) | instskip(SKIP_1) | instid1(VALU_DEP_3)
	v_mul_lo_u32 v15, s39, v13
	v_mad_u64_u32 v[9:10], null, s38, v13, 0
	v_mul_lo_u32 v16, s38, v14
	s_delay_alu instid0(VALU_DEP_2) | instskip(NEXT) | instid1(VALU_DEP_2)
	v_sub_co_u32 v9, vcc_lo, v11, v9
	v_add3_u32 v10, v10, v16, v15
	s_delay_alu instid0(VALU_DEP_1) | instskip(NEXT) | instid1(VALU_DEP_1)
	v_sub_nc_u32_e32 v15, v12, v10
	v_subrev_co_ci_u32_e64 v11, s7, s39, v15, vcc_lo
	v_add_co_u32 v15, s7, v13, 2
	s_delay_alu instid0(VALU_DEP_1) | instskip(SKIP_3) | instid1(VALU_DEP_3)
	v_add_co_ci_u32_e64 v16, s7, 0, v14, s7
	v_sub_co_u32 v17, s7, v9, s38
	v_sub_co_ci_u32_e32 v10, vcc_lo, v12, v10, vcc_lo
	v_subrev_co_ci_u32_e64 v11, s7, 0, v11, s7
	v_cmp_le_u32_e32 vcc_lo, s38, v17
	s_delay_alu instid0(VALU_DEP_3) | instskip(SKIP_1) | instid1(VALU_DEP_4)
	v_cmp_eq_u32_e64 s7, s39, v10
	v_cndmask_b32_e64 v12, 0, -1, vcc_lo
	v_cmp_le_u32_e32 vcc_lo, s39, v11
	v_cndmask_b32_e64 v17, 0, -1, vcc_lo
	v_cmp_le_u32_e32 vcc_lo, s38, v9
	;; [unrolled: 2-line block ×3, first 2 shown]
	v_cndmask_b32_e64 v18, 0, -1, vcc_lo
	v_cmp_eq_u32_e32 vcc_lo, s39, v11
	s_delay_alu instid0(VALU_DEP_2) | instskip(SKIP_3) | instid1(VALU_DEP_3)
	v_cndmask_b32_e64 v9, v18, v9, s7
	v_cndmask_b32_e32 v11, v17, v12, vcc_lo
	v_add_co_u32 v12, vcc_lo, v13, 1
	v_add_co_ci_u32_e32 v17, vcc_lo, 0, v14, vcc_lo
	v_cmp_ne_u32_e32 vcc_lo, 0, v11
	s_delay_alu instid0(VALU_DEP_2) | instskip(SKIP_1) | instid1(VALU_DEP_2)
	v_dual_cndmask_b32 v10, v17, v16 :: v_dual_cndmask_b32 v11, v12, v15
	v_cmp_ne_u32_e32 vcc_lo, 0, v9
	v_dual_cndmask_b32 v10, v14, v10 :: v_dual_cndmask_b32 v9, v13, v11
                                        ; implicit-def: $vgpr11
.LBB43_35:
	s_and_not1_saveexec_b32 s7, s9
	s_cbranch_execz .LBB43_37
; %bb.36:
	v_cvt_f32_u32_e32 v9, s38
	s_sub_i32 s9, 0, s38
	s_delay_alu instid0(VALU_DEP_1) | instskip(SKIP_2) | instid1(VALU_DEP_1)
	v_rcp_iflag_f32_e32 v9, v9
	s_waitcnt_depctr 0xfff
	v_mul_f32_e32 v9, 0x4f7ffffe, v9
	v_cvt_u32_f32_e32 v9, v9
	s_delay_alu instid0(VALU_DEP_1) | instskip(NEXT) | instid1(VALU_DEP_1)
	v_mul_lo_u32 v10, s9, v9
	v_mul_hi_u32 v10, v9, v10
	s_delay_alu instid0(VALU_DEP_1) | instskip(NEXT) | instid1(VALU_DEP_1)
	v_add_nc_u32_e32 v9, v9, v10
	v_mul_hi_u32 v9, v11, v9
	s_delay_alu instid0(VALU_DEP_1) | instskip(NEXT) | instid1(VALU_DEP_1)
	v_mul_lo_u32 v10, v9, s38
	v_sub_nc_u32_e32 v10, v11, v10
	v_add_nc_u32_e32 v11, 1, v9
	s_delay_alu instid0(VALU_DEP_2) | instskip(SKIP_1) | instid1(VALU_DEP_2)
	v_subrev_nc_u32_e32 v12, s38, v10
	v_cmp_le_u32_e32 vcc_lo, s38, v10
	v_dual_cndmask_b32 v10, v10, v12 :: v_dual_cndmask_b32 v9, v9, v11
	s_delay_alu instid0(VALU_DEP_1) | instskip(NEXT) | instid1(VALU_DEP_2)
	v_cmp_le_u32_e32 vcc_lo, s38, v10
	v_dual_mov_b32 v10, 0 :: v_dual_add_nc_u32 v11, 1, v9
	s_delay_alu instid0(VALU_DEP_1)
	v_cndmask_b32_e32 v9, v9, v11, vcc_lo
.LBB43_37:
	s_or_b32 exec_lo, exec_lo, s7
.LBB43_38:
	s_delay_alu instid0(SALU_CYCLE_1) | instskip(SKIP_2) | instid1(VALU_DEP_2)
	s_or_b32 exec_lo, exec_lo, s8
	v_or_b32_e32 v38, 0x500, v0
	v_dual_mov_b32 v11, v33 :: v_dual_mov_b32 v12, v34
	v_cmp_gt_u32_e64 s7, s52, v38
	s_delay_alu instid0(VALU_DEP_1)
	s_and_saveexec_b32 s9, s7
	s_cbranch_execz .LBB43_44
; %bb.39:
	v_add_co_u32 v13, s8, s40, v38
	s_delay_alu instid0(VALU_DEP_1) | instskip(SKIP_1) | instid1(VALU_DEP_2)
	v_add_co_ci_u32_e64 v14, null, s41, 0, s8
	v_mov_b32_e32 v11, 0
	v_or_b32_e32 v12, s39, v14
	s_delay_alu instid0(VALU_DEP_1) | instskip(SKIP_1) | instid1(SALU_CYCLE_1)
	v_cmp_ne_u64_e32 vcc_lo, 0, v[11:12]
                                        ; implicit-def: $vgpr11_vgpr12
	s_and_saveexec_b32 s8, vcc_lo
	s_xor_b32 s10, exec_lo, s8
	s_cbranch_execz .LBB43_41
; %bb.40:
	v_cvt_f32_u32_e32 v11, s38
	v_cvt_f32_u32_e32 v12, s39
	s_sub_u32 s8, 0, s38
	s_subb_u32 s11, 0, s39
	s_delay_alu instid0(VALU_DEP_1) | instskip(NEXT) | instid1(VALU_DEP_1)
	v_fmamk_f32 v11, v12, 0x4f800000, v11
	v_rcp_f32_e32 v11, v11
	s_waitcnt_depctr 0xfff
	v_mul_f32_e32 v11, 0x5f7ffffc, v11
	s_delay_alu instid0(VALU_DEP_1) | instskip(NEXT) | instid1(VALU_DEP_1)
	v_mul_f32_e32 v12, 0x2f800000, v11
	v_trunc_f32_e32 v12, v12
	s_delay_alu instid0(VALU_DEP_1) | instskip(SKIP_1) | instid1(VALU_DEP_2)
	v_fmamk_f32 v11, v12, 0xcf800000, v11
	v_cvt_u32_f32_e32 v12, v12
	v_cvt_u32_f32_e32 v11, v11
	s_delay_alu instid0(VALU_DEP_2) | instskip(NEXT) | instid1(VALU_DEP_2)
	v_mul_lo_u32 v15, s8, v12
	v_mul_hi_u32 v16, s8, v11
	v_mul_lo_u32 v17, s11, v11
	s_delay_alu instid0(VALU_DEP_2) | instskip(SKIP_1) | instid1(VALU_DEP_2)
	v_add_nc_u32_e32 v15, v16, v15
	v_mul_lo_u32 v16, s8, v11
	v_add_nc_u32_e32 v15, v15, v17
	s_delay_alu instid0(VALU_DEP_2) | instskip(NEXT) | instid1(VALU_DEP_2)
	v_mul_hi_u32 v17, v11, v16
	v_mul_lo_u32 v18, v11, v15
	v_mul_hi_u32 v19, v11, v15
	v_mul_hi_u32 v20, v12, v16
	v_mul_lo_u32 v16, v12, v16
	v_mul_hi_u32 v21, v12, v15
	v_mul_lo_u32 v15, v12, v15
	v_add_co_u32 v17, vcc_lo, v17, v18
	v_add_co_ci_u32_e32 v18, vcc_lo, 0, v19, vcc_lo
	s_delay_alu instid0(VALU_DEP_2) | instskip(NEXT) | instid1(VALU_DEP_2)
	v_add_co_u32 v16, vcc_lo, v17, v16
	v_add_co_ci_u32_e32 v16, vcc_lo, v18, v20, vcc_lo
	v_add_co_ci_u32_e32 v17, vcc_lo, 0, v21, vcc_lo
	s_delay_alu instid0(VALU_DEP_2) | instskip(NEXT) | instid1(VALU_DEP_2)
	v_add_co_u32 v15, vcc_lo, v16, v15
	v_add_co_ci_u32_e32 v16, vcc_lo, 0, v17, vcc_lo
	s_delay_alu instid0(VALU_DEP_2) | instskip(NEXT) | instid1(VALU_DEP_2)
	v_add_co_u32 v11, vcc_lo, v11, v15
	v_add_co_ci_u32_e32 v12, vcc_lo, v12, v16, vcc_lo
	s_delay_alu instid0(VALU_DEP_2) | instskip(SKIP_1) | instid1(VALU_DEP_3)
	v_mul_hi_u32 v15, s8, v11
	v_mul_lo_u32 v17, s11, v11
	v_mul_lo_u32 v16, s8, v12
	s_delay_alu instid0(VALU_DEP_1) | instskip(SKIP_1) | instid1(VALU_DEP_2)
	v_add_nc_u32_e32 v15, v15, v16
	v_mul_lo_u32 v16, s8, v11
	v_add_nc_u32_e32 v15, v15, v17
	s_delay_alu instid0(VALU_DEP_2) | instskip(NEXT) | instid1(VALU_DEP_2)
	v_mul_hi_u32 v17, v11, v16
	v_mul_lo_u32 v18, v11, v15
	v_mul_hi_u32 v19, v11, v15
	v_mul_hi_u32 v20, v12, v16
	v_mul_lo_u32 v16, v12, v16
	v_mul_hi_u32 v21, v12, v15
	v_mul_lo_u32 v15, v12, v15
	v_add_co_u32 v17, vcc_lo, v17, v18
	v_add_co_ci_u32_e32 v18, vcc_lo, 0, v19, vcc_lo
	s_delay_alu instid0(VALU_DEP_2) | instskip(NEXT) | instid1(VALU_DEP_2)
	v_add_co_u32 v16, vcc_lo, v17, v16
	v_add_co_ci_u32_e32 v16, vcc_lo, v18, v20, vcc_lo
	v_add_co_ci_u32_e32 v17, vcc_lo, 0, v21, vcc_lo
	s_delay_alu instid0(VALU_DEP_2) | instskip(NEXT) | instid1(VALU_DEP_2)
	v_add_co_u32 v15, vcc_lo, v16, v15
	v_add_co_ci_u32_e32 v16, vcc_lo, 0, v17, vcc_lo
	s_delay_alu instid0(VALU_DEP_2) | instskip(NEXT) | instid1(VALU_DEP_2)
	v_add_co_u32 v17, vcc_lo, v11, v15
	v_add_co_ci_u32_e32 v19, vcc_lo, v12, v16, vcc_lo
	s_delay_alu instid0(VALU_DEP_2) | instskip(SKIP_1) | instid1(VALU_DEP_3)
	v_mul_hi_u32 v20, v13, v17
	v_mad_u64_u32 v[15:16], null, v14, v17, 0
	v_mad_u64_u32 v[11:12], null, v13, v19, 0
	;; [unrolled: 1-line block ×3, first 2 shown]
	s_delay_alu instid0(VALU_DEP_2) | instskip(NEXT) | instid1(VALU_DEP_3)
	v_add_co_u32 v11, vcc_lo, v20, v11
	v_add_co_ci_u32_e32 v12, vcc_lo, 0, v12, vcc_lo
	s_delay_alu instid0(VALU_DEP_2) | instskip(NEXT) | instid1(VALU_DEP_2)
	v_add_co_u32 v11, vcc_lo, v11, v15
	v_add_co_ci_u32_e32 v11, vcc_lo, v12, v16, vcc_lo
	v_add_co_ci_u32_e32 v12, vcc_lo, 0, v18, vcc_lo
	s_delay_alu instid0(VALU_DEP_2) | instskip(NEXT) | instid1(VALU_DEP_2)
	v_add_co_u32 v15, vcc_lo, v11, v17
	v_add_co_ci_u32_e32 v16, vcc_lo, 0, v12, vcc_lo
	s_delay_alu instid0(VALU_DEP_2) | instskip(SKIP_1) | instid1(VALU_DEP_3)
	v_mul_lo_u32 v17, s39, v15
	v_mad_u64_u32 v[11:12], null, s38, v15, 0
	v_mul_lo_u32 v18, s38, v16
	s_delay_alu instid0(VALU_DEP_2) | instskip(NEXT) | instid1(VALU_DEP_2)
	v_sub_co_u32 v11, vcc_lo, v13, v11
	v_add3_u32 v12, v12, v18, v17
	s_delay_alu instid0(VALU_DEP_1) | instskip(NEXT) | instid1(VALU_DEP_1)
	v_sub_nc_u32_e32 v17, v14, v12
	v_subrev_co_ci_u32_e64 v13, s8, s39, v17, vcc_lo
	v_add_co_u32 v17, s8, v15, 2
	s_delay_alu instid0(VALU_DEP_1) | instskip(SKIP_3) | instid1(VALU_DEP_3)
	v_add_co_ci_u32_e64 v18, s8, 0, v16, s8
	v_sub_co_u32 v19, s8, v11, s38
	v_sub_co_ci_u32_e32 v12, vcc_lo, v14, v12, vcc_lo
	v_subrev_co_ci_u32_e64 v13, s8, 0, v13, s8
	v_cmp_le_u32_e32 vcc_lo, s38, v19
	s_delay_alu instid0(VALU_DEP_3) | instskip(SKIP_1) | instid1(VALU_DEP_4)
	v_cmp_eq_u32_e64 s8, s39, v12
	v_cndmask_b32_e64 v14, 0, -1, vcc_lo
	v_cmp_le_u32_e32 vcc_lo, s39, v13
	v_cndmask_b32_e64 v19, 0, -1, vcc_lo
	v_cmp_le_u32_e32 vcc_lo, s38, v11
	;; [unrolled: 2-line block ×3, first 2 shown]
	v_cndmask_b32_e64 v20, 0, -1, vcc_lo
	v_cmp_eq_u32_e32 vcc_lo, s39, v13
	s_delay_alu instid0(VALU_DEP_2) | instskip(SKIP_3) | instid1(VALU_DEP_3)
	v_cndmask_b32_e64 v11, v20, v11, s8
	v_cndmask_b32_e32 v13, v19, v14, vcc_lo
	v_add_co_u32 v14, vcc_lo, v15, 1
	v_add_co_ci_u32_e32 v19, vcc_lo, 0, v16, vcc_lo
	v_cmp_ne_u32_e32 vcc_lo, 0, v13
	s_delay_alu instid0(VALU_DEP_2) | instskip(SKIP_1) | instid1(VALU_DEP_2)
	v_dual_cndmask_b32 v12, v19, v18 :: v_dual_cndmask_b32 v13, v14, v17
	v_cmp_ne_u32_e32 vcc_lo, 0, v11
	v_dual_cndmask_b32 v12, v16, v12 :: v_dual_cndmask_b32 v11, v15, v13
                                        ; implicit-def: $vgpr13
.LBB43_41:
	s_and_not1_saveexec_b32 s8, s10
	s_cbranch_execz .LBB43_43
; %bb.42:
	v_cvt_f32_u32_e32 v11, s38
	s_sub_i32 s10, 0, s38
	s_delay_alu instid0(VALU_DEP_1) | instskip(SKIP_2) | instid1(VALU_DEP_1)
	v_rcp_iflag_f32_e32 v11, v11
	s_waitcnt_depctr 0xfff
	v_mul_f32_e32 v11, 0x4f7ffffe, v11
	v_cvt_u32_f32_e32 v11, v11
	s_delay_alu instid0(VALU_DEP_1) | instskip(NEXT) | instid1(VALU_DEP_1)
	v_mul_lo_u32 v12, s10, v11
	v_mul_hi_u32 v12, v11, v12
	s_delay_alu instid0(VALU_DEP_1) | instskip(NEXT) | instid1(VALU_DEP_1)
	v_add_nc_u32_e32 v11, v11, v12
	v_mul_hi_u32 v11, v13, v11
	s_delay_alu instid0(VALU_DEP_1) | instskip(NEXT) | instid1(VALU_DEP_1)
	v_mul_lo_u32 v12, v11, s38
	v_sub_nc_u32_e32 v12, v13, v12
	v_add_nc_u32_e32 v13, 1, v11
	s_delay_alu instid0(VALU_DEP_2) | instskip(SKIP_1) | instid1(VALU_DEP_2)
	v_subrev_nc_u32_e32 v14, s38, v12
	v_cmp_le_u32_e32 vcc_lo, s38, v12
	v_dual_cndmask_b32 v12, v12, v14 :: v_dual_cndmask_b32 v11, v11, v13
	s_delay_alu instid0(VALU_DEP_1) | instskip(NEXT) | instid1(VALU_DEP_2)
	v_cmp_le_u32_e32 vcc_lo, s38, v12
	v_dual_mov_b32 v12, 0 :: v_dual_add_nc_u32 v13, 1, v11
	s_delay_alu instid0(VALU_DEP_1)
	v_cndmask_b32_e32 v11, v11, v13, vcc_lo
.LBB43_43:
	s_or_b32 exec_lo, exec_lo, s8
.LBB43_44:
	s_delay_alu instid0(SALU_CYCLE_1) | instskip(SKIP_2) | instid1(VALU_DEP_2)
	s_or_b32 exec_lo, exec_lo, s9
	v_or_b32_e32 v40, 0x600, v0
	v_dual_mov_b32 v13, v33 :: v_dual_mov_b32 v14, v34
	v_cmp_gt_u32_e64 s8, s52, v40
	s_delay_alu instid0(VALU_DEP_1)
	s_and_saveexec_b32 s10, s8
	s_cbranch_execz .LBB43_50
; %bb.45:
	v_add_co_u32 v15, s9, s40, v40
	s_delay_alu instid0(VALU_DEP_1) | instskip(SKIP_1) | instid1(VALU_DEP_2)
	v_add_co_ci_u32_e64 v16, null, s41, 0, s9
	v_mov_b32_e32 v13, 0
	v_or_b32_e32 v14, s39, v16
	s_delay_alu instid0(VALU_DEP_1) | instskip(SKIP_1) | instid1(SALU_CYCLE_1)
	v_cmp_ne_u64_e32 vcc_lo, 0, v[13:14]
                                        ; implicit-def: $vgpr13_vgpr14
	s_and_saveexec_b32 s9, vcc_lo
	s_xor_b32 s11, exec_lo, s9
	s_cbranch_execz .LBB43_47
; %bb.46:
	v_cvt_f32_u32_e32 v13, s38
	v_cvt_f32_u32_e32 v14, s39
	s_sub_u32 s9, 0, s38
	s_subb_u32 s12, 0, s39
	s_delay_alu instid0(VALU_DEP_1) | instskip(NEXT) | instid1(VALU_DEP_1)
	v_fmamk_f32 v13, v14, 0x4f800000, v13
	v_rcp_f32_e32 v13, v13
	s_waitcnt_depctr 0xfff
	v_mul_f32_e32 v13, 0x5f7ffffc, v13
	s_delay_alu instid0(VALU_DEP_1) | instskip(NEXT) | instid1(VALU_DEP_1)
	v_mul_f32_e32 v14, 0x2f800000, v13
	v_trunc_f32_e32 v14, v14
	s_delay_alu instid0(VALU_DEP_1) | instskip(SKIP_1) | instid1(VALU_DEP_2)
	v_fmamk_f32 v13, v14, 0xcf800000, v13
	v_cvt_u32_f32_e32 v14, v14
	v_cvt_u32_f32_e32 v13, v13
	s_delay_alu instid0(VALU_DEP_2) | instskip(NEXT) | instid1(VALU_DEP_2)
	v_mul_lo_u32 v17, s9, v14
	v_mul_hi_u32 v18, s9, v13
	v_mul_lo_u32 v19, s12, v13
	s_delay_alu instid0(VALU_DEP_2) | instskip(SKIP_1) | instid1(VALU_DEP_2)
	v_add_nc_u32_e32 v17, v18, v17
	v_mul_lo_u32 v18, s9, v13
	v_add_nc_u32_e32 v17, v17, v19
	s_delay_alu instid0(VALU_DEP_2) | instskip(NEXT) | instid1(VALU_DEP_2)
	v_mul_hi_u32 v19, v13, v18
	v_mul_lo_u32 v20, v13, v17
	v_mul_hi_u32 v21, v13, v17
	v_mul_hi_u32 v22, v14, v18
	v_mul_lo_u32 v18, v14, v18
	v_mul_hi_u32 v23, v14, v17
	v_mul_lo_u32 v17, v14, v17
	v_add_co_u32 v19, vcc_lo, v19, v20
	v_add_co_ci_u32_e32 v20, vcc_lo, 0, v21, vcc_lo
	s_delay_alu instid0(VALU_DEP_2) | instskip(NEXT) | instid1(VALU_DEP_2)
	v_add_co_u32 v18, vcc_lo, v19, v18
	v_add_co_ci_u32_e32 v18, vcc_lo, v20, v22, vcc_lo
	v_add_co_ci_u32_e32 v19, vcc_lo, 0, v23, vcc_lo
	s_delay_alu instid0(VALU_DEP_2) | instskip(NEXT) | instid1(VALU_DEP_2)
	v_add_co_u32 v17, vcc_lo, v18, v17
	v_add_co_ci_u32_e32 v18, vcc_lo, 0, v19, vcc_lo
	s_delay_alu instid0(VALU_DEP_2) | instskip(NEXT) | instid1(VALU_DEP_2)
	v_add_co_u32 v13, vcc_lo, v13, v17
	v_add_co_ci_u32_e32 v14, vcc_lo, v14, v18, vcc_lo
	s_delay_alu instid0(VALU_DEP_2) | instskip(SKIP_1) | instid1(VALU_DEP_3)
	v_mul_hi_u32 v17, s9, v13
	v_mul_lo_u32 v19, s12, v13
	v_mul_lo_u32 v18, s9, v14
	s_delay_alu instid0(VALU_DEP_1) | instskip(SKIP_1) | instid1(VALU_DEP_2)
	v_add_nc_u32_e32 v17, v17, v18
	v_mul_lo_u32 v18, s9, v13
	v_add_nc_u32_e32 v17, v17, v19
	s_delay_alu instid0(VALU_DEP_2) | instskip(NEXT) | instid1(VALU_DEP_2)
	v_mul_hi_u32 v19, v13, v18
	v_mul_lo_u32 v20, v13, v17
	v_mul_hi_u32 v21, v13, v17
	v_mul_hi_u32 v22, v14, v18
	v_mul_lo_u32 v18, v14, v18
	v_mul_hi_u32 v23, v14, v17
	v_mul_lo_u32 v17, v14, v17
	v_add_co_u32 v19, vcc_lo, v19, v20
	v_add_co_ci_u32_e32 v20, vcc_lo, 0, v21, vcc_lo
	s_delay_alu instid0(VALU_DEP_2) | instskip(NEXT) | instid1(VALU_DEP_2)
	v_add_co_u32 v18, vcc_lo, v19, v18
	v_add_co_ci_u32_e32 v18, vcc_lo, v20, v22, vcc_lo
	v_add_co_ci_u32_e32 v19, vcc_lo, 0, v23, vcc_lo
	s_delay_alu instid0(VALU_DEP_2) | instskip(NEXT) | instid1(VALU_DEP_2)
	v_add_co_u32 v17, vcc_lo, v18, v17
	v_add_co_ci_u32_e32 v18, vcc_lo, 0, v19, vcc_lo
	s_delay_alu instid0(VALU_DEP_2) | instskip(NEXT) | instid1(VALU_DEP_2)
	v_add_co_u32 v19, vcc_lo, v13, v17
	v_add_co_ci_u32_e32 v21, vcc_lo, v14, v18, vcc_lo
	s_delay_alu instid0(VALU_DEP_2) | instskip(SKIP_1) | instid1(VALU_DEP_3)
	v_mul_hi_u32 v22, v15, v19
	v_mad_u64_u32 v[17:18], null, v16, v19, 0
	v_mad_u64_u32 v[13:14], null, v15, v21, 0
	;; [unrolled: 1-line block ×3, first 2 shown]
	s_delay_alu instid0(VALU_DEP_2) | instskip(NEXT) | instid1(VALU_DEP_3)
	v_add_co_u32 v13, vcc_lo, v22, v13
	v_add_co_ci_u32_e32 v14, vcc_lo, 0, v14, vcc_lo
	s_delay_alu instid0(VALU_DEP_2) | instskip(NEXT) | instid1(VALU_DEP_2)
	v_add_co_u32 v13, vcc_lo, v13, v17
	v_add_co_ci_u32_e32 v13, vcc_lo, v14, v18, vcc_lo
	v_add_co_ci_u32_e32 v14, vcc_lo, 0, v20, vcc_lo
	s_delay_alu instid0(VALU_DEP_2) | instskip(NEXT) | instid1(VALU_DEP_2)
	v_add_co_u32 v17, vcc_lo, v13, v19
	v_add_co_ci_u32_e32 v18, vcc_lo, 0, v14, vcc_lo
	s_delay_alu instid0(VALU_DEP_2) | instskip(SKIP_1) | instid1(VALU_DEP_3)
	v_mul_lo_u32 v19, s39, v17
	v_mad_u64_u32 v[13:14], null, s38, v17, 0
	v_mul_lo_u32 v20, s38, v18
	s_delay_alu instid0(VALU_DEP_2) | instskip(NEXT) | instid1(VALU_DEP_2)
	v_sub_co_u32 v13, vcc_lo, v15, v13
	v_add3_u32 v14, v14, v20, v19
	s_delay_alu instid0(VALU_DEP_1) | instskip(NEXT) | instid1(VALU_DEP_1)
	v_sub_nc_u32_e32 v19, v16, v14
	v_subrev_co_ci_u32_e64 v15, s9, s39, v19, vcc_lo
	v_add_co_u32 v19, s9, v17, 2
	s_delay_alu instid0(VALU_DEP_1) | instskip(SKIP_3) | instid1(VALU_DEP_3)
	v_add_co_ci_u32_e64 v20, s9, 0, v18, s9
	v_sub_co_u32 v21, s9, v13, s38
	v_sub_co_ci_u32_e32 v14, vcc_lo, v16, v14, vcc_lo
	v_subrev_co_ci_u32_e64 v15, s9, 0, v15, s9
	v_cmp_le_u32_e32 vcc_lo, s38, v21
	s_delay_alu instid0(VALU_DEP_3) | instskip(SKIP_1) | instid1(VALU_DEP_4)
	v_cmp_eq_u32_e64 s9, s39, v14
	v_cndmask_b32_e64 v16, 0, -1, vcc_lo
	v_cmp_le_u32_e32 vcc_lo, s39, v15
	v_cndmask_b32_e64 v21, 0, -1, vcc_lo
	v_cmp_le_u32_e32 vcc_lo, s38, v13
	v_cndmask_b32_e64 v13, 0, -1, vcc_lo
	v_cmp_le_u32_e32 vcc_lo, s39, v14
	v_cndmask_b32_e64 v22, 0, -1, vcc_lo
	v_cmp_eq_u32_e32 vcc_lo, s39, v15
	s_delay_alu instid0(VALU_DEP_2) | instskip(SKIP_3) | instid1(VALU_DEP_3)
	v_cndmask_b32_e64 v13, v22, v13, s9
	v_cndmask_b32_e32 v15, v21, v16, vcc_lo
	v_add_co_u32 v16, vcc_lo, v17, 1
	v_add_co_ci_u32_e32 v21, vcc_lo, 0, v18, vcc_lo
	v_cmp_ne_u32_e32 vcc_lo, 0, v15
	s_delay_alu instid0(VALU_DEP_2) | instskip(SKIP_1) | instid1(VALU_DEP_2)
	v_dual_cndmask_b32 v14, v21, v20 :: v_dual_cndmask_b32 v15, v16, v19
	v_cmp_ne_u32_e32 vcc_lo, 0, v13
	v_dual_cndmask_b32 v14, v18, v14 :: v_dual_cndmask_b32 v13, v17, v15
                                        ; implicit-def: $vgpr15
.LBB43_47:
	s_and_not1_saveexec_b32 s9, s11
	s_cbranch_execz .LBB43_49
; %bb.48:
	v_cvt_f32_u32_e32 v13, s38
	s_sub_i32 s11, 0, s38
	s_delay_alu instid0(VALU_DEP_1) | instskip(SKIP_2) | instid1(VALU_DEP_1)
	v_rcp_iflag_f32_e32 v13, v13
	s_waitcnt_depctr 0xfff
	v_mul_f32_e32 v13, 0x4f7ffffe, v13
	v_cvt_u32_f32_e32 v13, v13
	s_delay_alu instid0(VALU_DEP_1) | instskip(NEXT) | instid1(VALU_DEP_1)
	v_mul_lo_u32 v14, s11, v13
	v_mul_hi_u32 v14, v13, v14
	s_delay_alu instid0(VALU_DEP_1) | instskip(NEXT) | instid1(VALU_DEP_1)
	v_add_nc_u32_e32 v13, v13, v14
	v_mul_hi_u32 v13, v15, v13
	s_delay_alu instid0(VALU_DEP_1) | instskip(NEXT) | instid1(VALU_DEP_1)
	v_mul_lo_u32 v14, v13, s38
	v_sub_nc_u32_e32 v14, v15, v14
	v_add_nc_u32_e32 v15, 1, v13
	s_delay_alu instid0(VALU_DEP_2) | instskip(SKIP_1) | instid1(VALU_DEP_2)
	v_subrev_nc_u32_e32 v16, s38, v14
	v_cmp_le_u32_e32 vcc_lo, s38, v14
	v_dual_cndmask_b32 v14, v14, v16 :: v_dual_cndmask_b32 v13, v13, v15
	s_delay_alu instid0(VALU_DEP_1) | instskip(NEXT) | instid1(VALU_DEP_2)
	v_cmp_le_u32_e32 vcc_lo, s38, v14
	v_dual_mov_b32 v14, 0 :: v_dual_add_nc_u32 v15, 1, v13
	s_delay_alu instid0(VALU_DEP_1)
	v_cndmask_b32_e32 v13, v13, v15, vcc_lo
.LBB43_49:
	s_or_b32 exec_lo, exec_lo, s9
.LBB43_50:
	s_delay_alu instid0(SALU_CYCLE_1) | instskip(SKIP_2) | instid1(VALU_DEP_2)
	s_or_b32 exec_lo, exec_lo, s10
	v_or_b32_e32 v41, 0x700, v0
	v_dual_mov_b32 v15, v33 :: v_dual_mov_b32 v16, v34
	v_cmp_gt_u32_e64 s9, s52, v41
	s_delay_alu instid0(VALU_DEP_1)
	s_and_saveexec_b32 s11, s9
	s_cbranch_execz .LBB43_56
; %bb.51:
	v_add_co_u32 v17, s10, s40, v41
	s_delay_alu instid0(VALU_DEP_1) | instskip(SKIP_1) | instid1(VALU_DEP_2)
	v_add_co_ci_u32_e64 v18, null, s41, 0, s10
	v_mov_b32_e32 v15, 0
	v_or_b32_e32 v16, s39, v18
	s_delay_alu instid0(VALU_DEP_1) | instskip(SKIP_1) | instid1(SALU_CYCLE_1)
	v_cmp_ne_u64_e32 vcc_lo, 0, v[15:16]
                                        ; implicit-def: $vgpr15_vgpr16
	s_and_saveexec_b32 s10, vcc_lo
	s_xor_b32 s12, exec_lo, s10
	s_cbranch_execz .LBB43_53
; %bb.52:
	v_cvt_f32_u32_e32 v15, s38
	v_cvt_f32_u32_e32 v16, s39
	s_sub_u32 s10, 0, s38
	s_subb_u32 s13, 0, s39
	s_delay_alu instid0(VALU_DEP_1) | instskip(NEXT) | instid1(VALU_DEP_1)
	v_fmamk_f32 v15, v16, 0x4f800000, v15
	v_rcp_f32_e32 v15, v15
	s_waitcnt_depctr 0xfff
	v_mul_f32_e32 v15, 0x5f7ffffc, v15
	s_delay_alu instid0(VALU_DEP_1) | instskip(NEXT) | instid1(VALU_DEP_1)
	v_mul_f32_e32 v16, 0x2f800000, v15
	v_trunc_f32_e32 v16, v16
	s_delay_alu instid0(VALU_DEP_1) | instskip(SKIP_1) | instid1(VALU_DEP_2)
	v_fmamk_f32 v15, v16, 0xcf800000, v15
	v_cvt_u32_f32_e32 v16, v16
	v_cvt_u32_f32_e32 v15, v15
	s_delay_alu instid0(VALU_DEP_2) | instskip(NEXT) | instid1(VALU_DEP_2)
	v_mul_lo_u32 v19, s10, v16
	v_mul_hi_u32 v20, s10, v15
	v_mul_lo_u32 v21, s13, v15
	s_delay_alu instid0(VALU_DEP_2) | instskip(SKIP_1) | instid1(VALU_DEP_2)
	v_add_nc_u32_e32 v19, v20, v19
	v_mul_lo_u32 v20, s10, v15
	v_add_nc_u32_e32 v19, v19, v21
	s_delay_alu instid0(VALU_DEP_2) | instskip(NEXT) | instid1(VALU_DEP_2)
	v_mul_hi_u32 v21, v15, v20
	v_mul_lo_u32 v22, v15, v19
	v_mul_hi_u32 v23, v15, v19
	v_mul_hi_u32 v24, v16, v20
	v_mul_lo_u32 v20, v16, v20
	v_mul_hi_u32 v25, v16, v19
	v_mul_lo_u32 v19, v16, v19
	v_add_co_u32 v21, vcc_lo, v21, v22
	v_add_co_ci_u32_e32 v22, vcc_lo, 0, v23, vcc_lo
	s_delay_alu instid0(VALU_DEP_2) | instskip(NEXT) | instid1(VALU_DEP_2)
	v_add_co_u32 v20, vcc_lo, v21, v20
	v_add_co_ci_u32_e32 v20, vcc_lo, v22, v24, vcc_lo
	v_add_co_ci_u32_e32 v21, vcc_lo, 0, v25, vcc_lo
	s_delay_alu instid0(VALU_DEP_2) | instskip(NEXT) | instid1(VALU_DEP_2)
	v_add_co_u32 v19, vcc_lo, v20, v19
	v_add_co_ci_u32_e32 v20, vcc_lo, 0, v21, vcc_lo
	s_delay_alu instid0(VALU_DEP_2) | instskip(NEXT) | instid1(VALU_DEP_2)
	v_add_co_u32 v15, vcc_lo, v15, v19
	v_add_co_ci_u32_e32 v16, vcc_lo, v16, v20, vcc_lo
	s_delay_alu instid0(VALU_DEP_2) | instskip(SKIP_1) | instid1(VALU_DEP_3)
	v_mul_hi_u32 v19, s10, v15
	v_mul_lo_u32 v21, s13, v15
	v_mul_lo_u32 v20, s10, v16
	s_delay_alu instid0(VALU_DEP_1) | instskip(SKIP_1) | instid1(VALU_DEP_2)
	v_add_nc_u32_e32 v19, v19, v20
	v_mul_lo_u32 v20, s10, v15
	v_add_nc_u32_e32 v19, v19, v21
	s_delay_alu instid0(VALU_DEP_2) | instskip(NEXT) | instid1(VALU_DEP_2)
	v_mul_hi_u32 v21, v15, v20
	v_mul_lo_u32 v22, v15, v19
	v_mul_hi_u32 v23, v15, v19
	v_mul_hi_u32 v24, v16, v20
	v_mul_lo_u32 v20, v16, v20
	v_mul_hi_u32 v25, v16, v19
	v_mul_lo_u32 v19, v16, v19
	v_add_co_u32 v21, vcc_lo, v21, v22
	v_add_co_ci_u32_e32 v22, vcc_lo, 0, v23, vcc_lo
	s_delay_alu instid0(VALU_DEP_2) | instskip(NEXT) | instid1(VALU_DEP_2)
	v_add_co_u32 v20, vcc_lo, v21, v20
	v_add_co_ci_u32_e32 v20, vcc_lo, v22, v24, vcc_lo
	v_add_co_ci_u32_e32 v21, vcc_lo, 0, v25, vcc_lo
	s_delay_alu instid0(VALU_DEP_2) | instskip(NEXT) | instid1(VALU_DEP_2)
	v_add_co_u32 v19, vcc_lo, v20, v19
	v_add_co_ci_u32_e32 v20, vcc_lo, 0, v21, vcc_lo
	s_delay_alu instid0(VALU_DEP_2) | instskip(NEXT) | instid1(VALU_DEP_2)
	v_add_co_u32 v21, vcc_lo, v15, v19
	v_add_co_ci_u32_e32 v23, vcc_lo, v16, v20, vcc_lo
	s_delay_alu instid0(VALU_DEP_2) | instskip(SKIP_1) | instid1(VALU_DEP_3)
	v_mul_hi_u32 v24, v17, v21
	v_mad_u64_u32 v[19:20], null, v18, v21, 0
	v_mad_u64_u32 v[15:16], null, v17, v23, 0
	;; [unrolled: 1-line block ×3, first 2 shown]
	s_delay_alu instid0(VALU_DEP_2) | instskip(NEXT) | instid1(VALU_DEP_3)
	v_add_co_u32 v15, vcc_lo, v24, v15
	v_add_co_ci_u32_e32 v16, vcc_lo, 0, v16, vcc_lo
	s_delay_alu instid0(VALU_DEP_2) | instskip(NEXT) | instid1(VALU_DEP_2)
	v_add_co_u32 v15, vcc_lo, v15, v19
	v_add_co_ci_u32_e32 v15, vcc_lo, v16, v20, vcc_lo
	v_add_co_ci_u32_e32 v16, vcc_lo, 0, v22, vcc_lo
	s_delay_alu instid0(VALU_DEP_2) | instskip(NEXT) | instid1(VALU_DEP_2)
	v_add_co_u32 v19, vcc_lo, v15, v21
	v_add_co_ci_u32_e32 v20, vcc_lo, 0, v16, vcc_lo
	s_delay_alu instid0(VALU_DEP_2) | instskip(SKIP_1) | instid1(VALU_DEP_3)
	v_mul_lo_u32 v21, s39, v19
	v_mad_u64_u32 v[15:16], null, s38, v19, 0
	v_mul_lo_u32 v22, s38, v20
	s_delay_alu instid0(VALU_DEP_2) | instskip(NEXT) | instid1(VALU_DEP_2)
	v_sub_co_u32 v15, vcc_lo, v17, v15
	v_add3_u32 v16, v16, v22, v21
	s_delay_alu instid0(VALU_DEP_1) | instskip(NEXT) | instid1(VALU_DEP_1)
	v_sub_nc_u32_e32 v21, v18, v16
	v_subrev_co_ci_u32_e64 v17, s10, s39, v21, vcc_lo
	v_add_co_u32 v21, s10, v19, 2
	s_delay_alu instid0(VALU_DEP_1) | instskip(SKIP_3) | instid1(VALU_DEP_3)
	v_add_co_ci_u32_e64 v22, s10, 0, v20, s10
	v_sub_co_u32 v23, s10, v15, s38
	v_sub_co_ci_u32_e32 v16, vcc_lo, v18, v16, vcc_lo
	v_subrev_co_ci_u32_e64 v17, s10, 0, v17, s10
	v_cmp_le_u32_e32 vcc_lo, s38, v23
	s_delay_alu instid0(VALU_DEP_3) | instskip(SKIP_1) | instid1(VALU_DEP_4)
	v_cmp_eq_u32_e64 s10, s39, v16
	v_cndmask_b32_e64 v18, 0, -1, vcc_lo
	v_cmp_le_u32_e32 vcc_lo, s39, v17
	v_cndmask_b32_e64 v23, 0, -1, vcc_lo
	v_cmp_le_u32_e32 vcc_lo, s38, v15
	;; [unrolled: 2-line block ×3, first 2 shown]
	v_cndmask_b32_e64 v24, 0, -1, vcc_lo
	v_cmp_eq_u32_e32 vcc_lo, s39, v17
	s_delay_alu instid0(VALU_DEP_2) | instskip(SKIP_3) | instid1(VALU_DEP_3)
	v_cndmask_b32_e64 v15, v24, v15, s10
	v_cndmask_b32_e32 v17, v23, v18, vcc_lo
	v_add_co_u32 v18, vcc_lo, v19, 1
	v_add_co_ci_u32_e32 v23, vcc_lo, 0, v20, vcc_lo
	v_cmp_ne_u32_e32 vcc_lo, 0, v17
	s_delay_alu instid0(VALU_DEP_2) | instskip(SKIP_1) | instid1(VALU_DEP_2)
	v_dual_cndmask_b32 v16, v23, v22 :: v_dual_cndmask_b32 v17, v18, v21
	v_cmp_ne_u32_e32 vcc_lo, 0, v15
	v_dual_cndmask_b32 v16, v20, v16 :: v_dual_cndmask_b32 v15, v19, v17
                                        ; implicit-def: $vgpr17
.LBB43_53:
	s_and_not1_saveexec_b32 s10, s12
	s_cbranch_execz .LBB43_55
; %bb.54:
	v_cvt_f32_u32_e32 v15, s38
	s_sub_i32 s12, 0, s38
	s_delay_alu instid0(VALU_DEP_1) | instskip(SKIP_2) | instid1(VALU_DEP_1)
	v_rcp_iflag_f32_e32 v15, v15
	s_waitcnt_depctr 0xfff
	v_mul_f32_e32 v15, 0x4f7ffffe, v15
	v_cvt_u32_f32_e32 v15, v15
	s_delay_alu instid0(VALU_DEP_1) | instskip(NEXT) | instid1(VALU_DEP_1)
	v_mul_lo_u32 v16, s12, v15
	v_mul_hi_u32 v16, v15, v16
	s_delay_alu instid0(VALU_DEP_1) | instskip(NEXT) | instid1(VALU_DEP_1)
	v_add_nc_u32_e32 v15, v15, v16
	v_mul_hi_u32 v15, v17, v15
	s_delay_alu instid0(VALU_DEP_1) | instskip(NEXT) | instid1(VALU_DEP_1)
	v_mul_lo_u32 v16, v15, s38
	v_sub_nc_u32_e32 v16, v17, v16
	v_add_nc_u32_e32 v17, 1, v15
	s_delay_alu instid0(VALU_DEP_2) | instskip(SKIP_1) | instid1(VALU_DEP_2)
	v_subrev_nc_u32_e32 v18, s38, v16
	v_cmp_le_u32_e32 vcc_lo, s38, v16
	v_dual_cndmask_b32 v16, v16, v18 :: v_dual_cndmask_b32 v15, v15, v17
	s_delay_alu instid0(VALU_DEP_1) | instskip(NEXT) | instid1(VALU_DEP_2)
	v_cmp_le_u32_e32 vcc_lo, s38, v16
	v_dual_mov_b32 v16, 0 :: v_dual_add_nc_u32 v17, 1, v15
	s_delay_alu instid0(VALU_DEP_1)
	v_cndmask_b32_e32 v15, v15, v17, vcc_lo
.LBB43_55:
	s_or_b32 exec_lo, exec_lo, s10
.LBB43_56:
	s_delay_alu instid0(SALU_CYCLE_1) | instskip(SKIP_2) | instid1(VALU_DEP_2)
	s_or_b32 exec_lo, exec_lo, s11
	v_or_b32_e32 v42, 0x800, v0
	v_dual_mov_b32 v17, v33 :: v_dual_mov_b32 v18, v34
	v_cmp_gt_u32_e64 s10, s52, v42
	s_delay_alu instid0(VALU_DEP_1)
	s_and_saveexec_b32 s12, s10
	s_cbranch_execz .LBB43_62
; %bb.57:
	v_add_co_u32 v19, s11, s40, v42
	s_delay_alu instid0(VALU_DEP_1) | instskip(SKIP_1) | instid1(VALU_DEP_2)
	v_add_co_ci_u32_e64 v20, null, s41, 0, s11
	v_mov_b32_e32 v17, 0
	v_or_b32_e32 v18, s39, v20
	s_delay_alu instid0(VALU_DEP_1) | instskip(SKIP_1) | instid1(SALU_CYCLE_1)
	v_cmp_ne_u64_e32 vcc_lo, 0, v[17:18]
                                        ; implicit-def: $vgpr17_vgpr18
	s_and_saveexec_b32 s11, vcc_lo
	s_xor_b32 s13, exec_lo, s11
	s_cbranch_execz .LBB43_59
; %bb.58:
	v_cvt_f32_u32_e32 v17, s38
	v_cvt_f32_u32_e32 v18, s39
	s_sub_u32 s11, 0, s38
	s_subb_u32 s14, 0, s39
	s_delay_alu instid0(VALU_DEP_1) | instskip(NEXT) | instid1(VALU_DEP_1)
	v_fmamk_f32 v17, v18, 0x4f800000, v17
	v_rcp_f32_e32 v17, v17
	s_waitcnt_depctr 0xfff
	v_mul_f32_e32 v17, 0x5f7ffffc, v17
	s_delay_alu instid0(VALU_DEP_1) | instskip(NEXT) | instid1(VALU_DEP_1)
	v_mul_f32_e32 v18, 0x2f800000, v17
	v_trunc_f32_e32 v18, v18
	s_delay_alu instid0(VALU_DEP_1) | instskip(SKIP_1) | instid1(VALU_DEP_2)
	v_fmamk_f32 v17, v18, 0xcf800000, v17
	v_cvt_u32_f32_e32 v18, v18
	v_cvt_u32_f32_e32 v17, v17
	s_delay_alu instid0(VALU_DEP_2) | instskip(NEXT) | instid1(VALU_DEP_2)
	v_mul_lo_u32 v21, s11, v18
	v_mul_hi_u32 v22, s11, v17
	v_mul_lo_u32 v23, s14, v17
	s_delay_alu instid0(VALU_DEP_2) | instskip(SKIP_1) | instid1(VALU_DEP_2)
	v_add_nc_u32_e32 v21, v22, v21
	v_mul_lo_u32 v22, s11, v17
	v_add_nc_u32_e32 v21, v21, v23
	s_delay_alu instid0(VALU_DEP_2) | instskip(NEXT) | instid1(VALU_DEP_2)
	v_mul_hi_u32 v23, v17, v22
	v_mul_lo_u32 v24, v17, v21
	v_mul_hi_u32 v25, v17, v21
	v_mul_hi_u32 v26, v18, v22
	v_mul_lo_u32 v22, v18, v22
	v_mul_hi_u32 v27, v18, v21
	v_mul_lo_u32 v21, v18, v21
	v_add_co_u32 v23, vcc_lo, v23, v24
	v_add_co_ci_u32_e32 v24, vcc_lo, 0, v25, vcc_lo
	s_delay_alu instid0(VALU_DEP_2) | instskip(NEXT) | instid1(VALU_DEP_2)
	v_add_co_u32 v22, vcc_lo, v23, v22
	v_add_co_ci_u32_e32 v22, vcc_lo, v24, v26, vcc_lo
	v_add_co_ci_u32_e32 v23, vcc_lo, 0, v27, vcc_lo
	s_delay_alu instid0(VALU_DEP_2) | instskip(NEXT) | instid1(VALU_DEP_2)
	v_add_co_u32 v21, vcc_lo, v22, v21
	v_add_co_ci_u32_e32 v22, vcc_lo, 0, v23, vcc_lo
	s_delay_alu instid0(VALU_DEP_2) | instskip(NEXT) | instid1(VALU_DEP_2)
	v_add_co_u32 v17, vcc_lo, v17, v21
	v_add_co_ci_u32_e32 v18, vcc_lo, v18, v22, vcc_lo
	s_delay_alu instid0(VALU_DEP_2) | instskip(SKIP_1) | instid1(VALU_DEP_3)
	v_mul_hi_u32 v21, s11, v17
	v_mul_lo_u32 v23, s14, v17
	v_mul_lo_u32 v22, s11, v18
	s_delay_alu instid0(VALU_DEP_1) | instskip(SKIP_1) | instid1(VALU_DEP_2)
	v_add_nc_u32_e32 v21, v21, v22
	v_mul_lo_u32 v22, s11, v17
	v_add_nc_u32_e32 v21, v21, v23
	s_delay_alu instid0(VALU_DEP_2) | instskip(NEXT) | instid1(VALU_DEP_2)
	v_mul_hi_u32 v23, v17, v22
	v_mul_lo_u32 v24, v17, v21
	v_mul_hi_u32 v25, v17, v21
	v_mul_hi_u32 v26, v18, v22
	v_mul_lo_u32 v22, v18, v22
	v_mul_hi_u32 v27, v18, v21
	v_mul_lo_u32 v21, v18, v21
	v_add_co_u32 v23, vcc_lo, v23, v24
	v_add_co_ci_u32_e32 v24, vcc_lo, 0, v25, vcc_lo
	s_delay_alu instid0(VALU_DEP_2) | instskip(NEXT) | instid1(VALU_DEP_2)
	v_add_co_u32 v22, vcc_lo, v23, v22
	v_add_co_ci_u32_e32 v22, vcc_lo, v24, v26, vcc_lo
	v_add_co_ci_u32_e32 v23, vcc_lo, 0, v27, vcc_lo
	s_delay_alu instid0(VALU_DEP_2) | instskip(NEXT) | instid1(VALU_DEP_2)
	v_add_co_u32 v21, vcc_lo, v22, v21
	v_add_co_ci_u32_e32 v22, vcc_lo, 0, v23, vcc_lo
	s_delay_alu instid0(VALU_DEP_2) | instskip(NEXT) | instid1(VALU_DEP_2)
	v_add_co_u32 v23, vcc_lo, v17, v21
	v_add_co_ci_u32_e32 v25, vcc_lo, v18, v22, vcc_lo
	s_delay_alu instid0(VALU_DEP_2) | instskip(SKIP_1) | instid1(VALU_DEP_3)
	v_mul_hi_u32 v26, v19, v23
	v_mad_u64_u32 v[21:22], null, v20, v23, 0
	v_mad_u64_u32 v[17:18], null, v19, v25, 0
	;; [unrolled: 1-line block ×3, first 2 shown]
	s_delay_alu instid0(VALU_DEP_2) | instskip(NEXT) | instid1(VALU_DEP_3)
	v_add_co_u32 v17, vcc_lo, v26, v17
	v_add_co_ci_u32_e32 v18, vcc_lo, 0, v18, vcc_lo
	s_delay_alu instid0(VALU_DEP_2) | instskip(NEXT) | instid1(VALU_DEP_2)
	v_add_co_u32 v17, vcc_lo, v17, v21
	v_add_co_ci_u32_e32 v17, vcc_lo, v18, v22, vcc_lo
	v_add_co_ci_u32_e32 v18, vcc_lo, 0, v24, vcc_lo
	s_delay_alu instid0(VALU_DEP_2) | instskip(NEXT) | instid1(VALU_DEP_2)
	v_add_co_u32 v21, vcc_lo, v17, v23
	v_add_co_ci_u32_e32 v22, vcc_lo, 0, v18, vcc_lo
	s_delay_alu instid0(VALU_DEP_2) | instskip(SKIP_1) | instid1(VALU_DEP_3)
	v_mul_lo_u32 v23, s39, v21
	v_mad_u64_u32 v[17:18], null, s38, v21, 0
	v_mul_lo_u32 v24, s38, v22
	s_delay_alu instid0(VALU_DEP_2) | instskip(NEXT) | instid1(VALU_DEP_2)
	v_sub_co_u32 v17, vcc_lo, v19, v17
	v_add3_u32 v18, v18, v24, v23
	s_delay_alu instid0(VALU_DEP_1) | instskip(NEXT) | instid1(VALU_DEP_1)
	v_sub_nc_u32_e32 v23, v20, v18
	v_subrev_co_ci_u32_e64 v19, s11, s39, v23, vcc_lo
	v_add_co_u32 v23, s11, v21, 2
	s_delay_alu instid0(VALU_DEP_1) | instskip(SKIP_3) | instid1(VALU_DEP_3)
	v_add_co_ci_u32_e64 v24, s11, 0, v22, s11
	v_sub_co_u32 v25, s11, v17, s38
	v_sub_co_ci_u32_e32 v18, vcc_lo, v20, v18, vcc_lo
	v_subrev_co_ci_u32_e64 v19, s11, 0, v19, s11
	v_cmp_le_u32_e32 vcc_lo, s38, v25
	s_delay_alu instid0(VALU_DEP_3) | instskip(SKIP_1) | instid1(VALU_DEP_4)
	v_cmp_eq_u32_e64 s11, s39, v18
	v_cndmask_b32_e64 v20, 0, -1, vcc_lo
	v_cmp_le_u32_e32 vcc_lo, s39, v19
	v_cndmask_b32_e64 v25, 0, -1, vcc_lo
	v_cmp_le_u32_e32 vcc_lo, s38, v17
	;; [unrolled: 2-line block ×3, first 2 shown]
	v_cndmask_b32_e64 v26, 0, -1, vcc_lo
	v_cmp_eq_u32_e32 vcc_lo, s39, v19
	s_delay_alu instid0(VALU_DEP_2) | instskip(SKIP_3) | instid1(VALU_DEP_3)
	v_cndmask_b32_e64 v17, v26, v17, s11
	v_cndmask_b32_e32 v19, v25, v20, vcc_lo
	v_add_co_u32 v20, vcc_lo, v21, 1
	v_add_co_ci_u32_e32 v25, vcc_lo, 0, v22, vcc_lo
	v_cmp_ne_u32_e32 vcc_lo, 0, v19
	s_delay_alu instid0(VALU_DEP_2) | instskip(SKIP_1) | instid1(VALU_DEP_2)
	v_dual_cndmask_b32 v18, v25, v24 :: v_dual_cndmask_b32 v19, v20, v23
	v_cmp_ne_u32_e32 vcc_lo, 0, v17
	v_dual_cndmask_b32 v18, v22, v18 :: v_dual_cndmask_b32 v17, v21, v19
                                        ; implicit-def: $vgpr19
.LBB43_59:
	s_and_not1_saveexec_b32 s11, s13
	s_cbranch_execz .LBB43_61
; %bb.60:
	v_cvt_f32_u32_e32 v17, s38
	s_sub_i32 s13, 0, s38
	s_delay_alu instid0(VALU_DEP_1) | instskip(SKIP_2) | instid1(VALU_DEP_1)
	v_rcp_iflag_f32_e32 v17, v17
	s_waitcnt_depctr 0xfff
	v_mul_f32_e32 v17, 0x4f7ffffe, v17
	v_cvt_u32_f32_e32 v17, v17
	s_delay_alu instid0(VALU_DEP_1) | instskip(NEXT) | instid1(VALU_DEP_1)
	v_mul_lo_u32 v18, s13, v17
	v_mul_hi_u32 v18, v17, v18
	s_delay_alu instid0(VALU_DEP_1) | instskip(NEXT) | instid1(VALU_DEP_1)
	v_add_nc_u32_e32 v17, v17, v18
	v_mul_hi_u32 v17, v19, v17
	s_delay_alu instid0(VALU_DEP_1) | instskip(NEXT) | instid1(VALU_DEP_1)
	v_mul_lo_u32 v18, v17, s38
	v_sub_nc_u32_e32 v18, v19, v18
	v_add_nc_u32_e32 v19, 1, v17
	s_delay_alu instid0(VALU_DEP_2) | instskip(SKIP_1) | instid1(VALU_DEP_2)
	v_subrev_nc_u32_e32 v20, s38, v18
	v_cmp_le_u32_e32 vcc_lo, s38, v18
	v_dual_cndmask_b32 v18, v18, v20 :: v_dual_cndmask_b32 v17, v17, v19
	s_delay_alu instid0(VALU_DEP_1) | instskip(NEXT) | instid1(VALU_DEP_2)
	v_cmp_le_u32_e32 vcc_lo, s38, v18
	v_dual_mov_b32 v18, 0 :: v_dual_add_nc_u32 v19, 1, v17
	s_delay_alu instid0(VALU_DEP_1)
	v_cndmask_b32_e32 v17, v17, v19, vcc_lo
.LBB43_61:
	s_or_b32 exec_lo, exec_lo, s11
.LBB43_62:
	s_delay_alu instid0(SALU_CYCLE_1) | instskip(SKIP_2) | instid1(VALU_DEP_2)
	s_or_b32 exec_lo, exec_lo, s12
	v_or_b32_e32 v43, 0x900, v0
	v_dual_mov_b32 v19, v33 :: v_dual_mov_b32 v20, v34
	v_cmp_gt_u32_e64 s11, s52, v43
	s_delay_alu instid0(VALU_DEP_1)
	s_and_saveexec_b32 s13, s11
	s_cbranch_execz .LBB43_68
; %bb.63:
	v_add_co_u32 v21, s12, s40, v43
	s_delay_alu instid0(VALU_DEP_1) | instskip(SKIP_1) | instid1(VALU_DEP_2)
	v_add_co_ci_u32_e64 v22, null, s41, 0, s12
	v_mov_b32_e32 v19, 0
	v_or_b32_e32 v20, s39, v22
	s_delay_alu instid0(VALU_DEP_1) | instskip(SKIP_1) | instid1(SALU_CYCLE_1)
	v_cmp_ne_u64_e32 vcc_lo, 0, v[19:20]
                                        ; implicit-def: $vgpr19_vgpr20
	s_and_saveexec_b32 s12, vcc_lo
	s_xor_b32 s14, exec_lo, s12
	s_cbranch_execz .LBB43_65
; %bb.64:
	v_cvt_f32_u32_e32 v19, s38
	v_cvt_f32_u32_e32 v20, s39
	s_sub_u32 s12, 0, s38
	s_subb_u32 s15, 0, s39
	s_delay_alu instid0(VALU_DEP_1) | instskip(NEXT) | instid1(VALU_DEP_1)
	v_fmamk_f32 v19, v20, 0x4f800000, v19
	v_rcp_f32_e32 v19, v19
	s_waitcnt_depctr 0xfff
	v_mul_f32_e32 v19, 0x5f7ffffc, v19
	s_delay_alu instid0(VALU_DEP_1) | instskip(NEXT) | instid1(VALU_DEP_1)
	v_mul_f32_e32 v20, 0x2f800000, v19
	v_trunc_f32_e32 v20, v20
	s_delay_alu instid0(VALU_DEP_1) | instskip(SKIP_1) | instid1(VALU_DEP_2)
	v_fmamk_f32 v19, v20, 0xcf800000, v19
	v_cvt_u32_f32_e32 v20, v20
	v_cvt_u32_f32_e32 v19, v19
	s_delay_alu instid0(VALU_DEP_2) | instskip(NEXT) | instid1(VALU_DEP_2)
	v_mul_lo_u32 v23, s12, v20
	v_mul_hi_u32 v24, s12, v19
	v_mul_lo_u32 v25, s15, v19
	s_delay_alu instid0(VALU_DEP_2) | instskip(SKIP_1) | instid1(VALU_DEP_2)
	v_add_nc_u32_e32 v23, v24, v23
	v_mul_lo_u32 v24, s12, v19
	v_add_nc_u32_e32 v23, v23, v25
	s_delay_alu instid0(VALU_DEP_2) | instskip(NEXT) | instid1(VALU_DEP_2)
	v_mul_hi_u32 v25, v19, v24
	v_mul_lo_u32 v26, v19, v23
	v_mul_hi_u32 v27, v19, v23
	v_mul_hi_u32 v28, v20, v24
	v_mul_lo_u32 v24, v20, v24
	v_mul_hi_u32 v29, v20, v23
	v_mul_lo_u32 v23, v20, v23
	v_add_co_u32 v25, vcc_lo, v25, v26
	v_add_co_ci_u32_e32 v26, vcc_lo, 0, v27, vcc_lo
	s_delay_alu instid0(VALU_DEP_2) | instskip(NEXT) | instid1(VALU_DEP_2)
	v_add_co_u32 v24, vcc_lo, v25, v24
	v_add_co_ci_u32_e32 v24, vcc_lo, v26, v28, vcc_lo
	v_add_co_ci_u32_e32 v25, vcc_lo, 0, v29, vcc_lo
	s_delay_alu instid0(VALU_DEP_2) | instskip(NEXT) | instid1(VALU_DEP_2)
	v_add_co_u32 v23, vcc_lo, v24, v23
	v_add_co_ci_u32_e32 v24, vcc_lo, 0, v25, vcc_lo
	s_delay_alu instid0(VALU_DEP_2) | instskip(NEXT) | instid1(VALU_DEP_2)
	v_add_co_u32 v19, vcc_lo, v19, v23
	v_add_co_ci_u32_e32 v20, vcc_lo, v20, v24, vcc_lo
	s_delay_alu instid0(VALU_DEP_2) | instskip(SKIP_1) | instid1(VALU_DEP_3)
	v_mul_hi_u32 v23, s12, v19
	v_mul_lo_u32 v25, s15, v19
	v_mul_lo_u32 v24, s12, v20
	s_delay_alu instid0(VALU_DEP_1) | instskip(SKIP_1) | instid1(VALU_DEP_2)
	v_add_nc_u32_e32 v23, v23, v24
	v_mul_lo_u32 v24, s12, v19
	v_add_nc_u32_e32 v23, v23, v25
	s_delay_alu instid0(VALU_DEP_2) | instskip(NEXT) | instid1(VALU_DEP_2)
	v_mul_hi_u32 v25, v19, v24
	v_mul_lo_u32 v26, v19, v23
	v_mul_hi_u32 v27, v19, v23
	v_mul_hi_u32 v28, v20, v24
	v_mul_lo_u32 v24, v20, v24
	v_mul_hi_u32 v29, v20, v23
	v_mul_lo_u32 v23, v20, v23
	v_add_co_u32 v25, vcc_lo, v25, v26
	v_add_co_ci_u32_e32 v26, vcc_lo, 0, v27, vcc_lo
	s_delay_alu instid0(VALU_DEP_2) | instskip(NEXT) | instid1(VALU_DEP_2)
	v_add_co_u32 v24, vcc_lo, v25, v24
	v_add_co_ci_u32_e32 v24, vcc_lo, v26, v28, vcc_lo
	v_add_co_ci_u32_e32 v25, vcc_lo, 0, v29, vcc_lo
	s_delay_alu instid0(VALU_DEP_2) | instskip(NEXT) | instid1(VALU_DEP_2)
	v_add_co_u32 v23, vcc_lo, v24, v23
	v_add_co_ci_u32_e32 v24, vcc_lo, 0, v25, vcc_lo
	s_delay_alu instid0(VALU_DEP_2) | instskip(NEXT) | instid1(VALU_DEP_2)
	v_add_co_u32 v25, vcc_lo, v19, v23
	v_add_co_ci_u32_e32 v27, vcc_lo, v20, v24, vcc_lo
	s_delay_alu instid0(VALU_DEP_2) | instskip(SKIP_1) | instid1(VALU_DEP_3)
	v_mul_hi_u32 v28, v21, v25
	v_mad_u64_u32 v[23:24], null, v22, v25, 0
	v_mad_u64_u32 v[19:20], null, v21, v27, 0
	;; [unrolled: 1-line block ×3, first 2 shown]
	s_delay_alu instid0(VALU_DEP_2) | instskip(NEXT) | instid1(VALU_DEP_3)
	v_add_co_u32 v19, vcc_lo, v28, v19
	v_add_co_ci_u32_e32 v20, vcc_lo, 0, v20, vcc_lo
	s_delay_alu instid0(VALU_DEP_2) | instskip(NEXT) | instid1(VALU_DEP_2)
	v_add_co_u32 v19, vcc_lo, v19, v23
	v_add_co_ci_u32_e32 v19, vcc_lo, v20, v24, vcc_lo
	v_add_co_ci_u32_e32 v20, vcc_lo, 0, v26, vcc_lo
	s_delay_alu instid0(VALU_DEP_2) | instskip(NEXT) | instid1(VALU_DEP_2)
	v_add_co_u32 v23, vcc_lo, v19, v25
	v_add_co_ci_u32_e32 v24, vcc_lo, 0, v20, vcc_lo
	s_delay_alu instid0(VALU_DEP_2) | instskip(SKIP_1) | instid1(VALU_DEP_3)
	v_mul_lo_u32 v25, s39, v23
	v_mad_u64_u32 v[19:20], null, s38, v23, 0
	v_mul_lo_u32 v26, s38, v24
	s_delay_alu instid0(VALU_DEP_2) | instskip(NEXT) | instid1(VALU_DEP_2)
	v_sub_co_u32 v19, vcc_lo, v21, v19
	v_add3_u32 v20, v20, v26, v25
	s_delay_alu instid0(VALU_DEP_1) | instskip(NEXT) | instid1(VALU_DEP_1)
	v_sub_nc_u32_e32 v25, v22, v20
	v_subrev_co_ci_u32_e64 v21, s12, s39, v25, vcc_lo
	v_add_co_u32 v25, s12, v23, 2
	s_delay_alu instid0(VALU_DEP_1) | instskip(SKIP_3) | instid1(VALU_DEP_3)
	v_add_co_ci_u32_e64 v26, s12, 0, v24, s12
	v_sub_co_u32 v27, s12, v19, s38
	v_sub_co_ci_u32_e32 v20, vcc_lo, v22, v20, vcc_lo
	v_subrev_co_ci_u32_e64 v21, s12, 0, v21, s12
	v_cmp_le_u32_e32 vcc_lo, s38, v27
	s_delay_alu instid0(VALU_DEP_3) | instskip(SKIP_1) | instid1(VALU_DEP_4)
	v_cmp_eq_u32_e64 s12, s39, v20
	v_cndmask_b32_e64 v22, 0, -1, vcc_lo
	v_cmp_le_u32_e32 vcc_lo, s39, v21
	v_cndmask_b32_e64 v27, 0, -1, vcc_lo
	v_cmp_le_u32_e32 vcc_lo, s38, v19
	v_cndmask_b32_e64 v19, 0, -1, vcc_lo
	v_cmp_le_u32_e32 vcc_lo, s39, v20
	v_cndmask_b32_e64 v28, 0, -1, vcc_lo
	v_cmp_eq_u32_e32 vcc_lo, s39, v21
	s_delay_alu instid0(VALU_DEP_2) | instskip(SKIP_3) | instid1(VALU_DEP_3)
	v_cndmask_b32_e64 v19, v28, v19, s12
	v_cndmask_b32_e32 v21, v27, v22, vcc_lo
	v_add_co_u32 v22, vcc_lo, v23, 1
	v_add_co_ci_u32_e32 v27, vcc_lo, 0, v24, vcc_lo
	v_cmp_ne_u32_e32 vcc_lo, 0, v21
	s_delay_alu instid0(VALU_DEP_2) | instskip(SKIP_1) | instid1(VALU_DEP_2)
	v_dual_cndmask_b32 v20, v27, v26 :: v_dual_cndmask_b32 v21, v22, v25
	v_cmp_ne_u32_e32 vcc_lo, 0, v19
	v_dual_cndmask_b32 v20, v24, v20 :: v_dual_cndmask_b32 v19, v23, v21
                                        ; implicit-def: $vgpr21
.LBB43_65:
	s_and_not1_saveexec_b32 s12, s14
	s_cbranch_execz .LBB43_67
; %bb.66:
	v_cvt_f32_u32_e32 v19, s38
	s_sub_i32 s14, 0, s38
	s_delay_alu instid0(VALU_DEP_1) | instskip(SKIP_2) | instid1(VALU_DEP_1)
	v_rcp_iflag_f32_e32 v19, v19
	s_waitcnt_depctr 0xfff
	v_mul_f32_e32 v19, 0x4f7ffffe, v19
	v_cvt_u32_f32_e32 v19, v19
	s_delay_alu instid0(VALU_DEP_1) | instskip(NEXT) | instid1(VALU_DEP_1)
	v_mul_lo_u32 v20, s14, v19
	v_mul_hi_u32 v20, v19, v20
	s_delay_alu instid0(VALU_DEP_1) | instskip(NEXT) | instid1(VALU_DEP_1)
	v_add_nc_u32_e32 v19, v19, v20
	v_mul_hi_u32 v19, v21, v19
	s_delay_alu instid0(VALU_DEP_1) | instskip(NEXT) | instid1(VALU_DEP_1)
	v_mul_lo_u32 v20, v19, s38
	v_sub_nc_u32_e32 v20, v21, v20
	v_add_nc_u32_e32 v21, 1, v19
	s_delay_alu instid0(VALU_DEP_2) | instskip(SKIP_1) | instid1(VALU_DEP_2)
	v_subrev_nc_u32_e32 v22, s38, v20
	v_cmp_le_u32_e32 vcc_lo, s38, v20
	v_dual_cndmask_b32 v20, v20, v22 :: v_dual_cndmask_b32 v19, v19, v21
	s_delay_alu instid0(VALU_DEP_1) | instskip(NEXT) | instid1(VALU_DEP_2)
	v_cmp_le_u32_e32 vcc_lo, s38, v20
	v_dual_mov_b32 v20, 0 :: v_dual_add_nc_u32 v21, 1, v19
	s_delay_alu instid0(VALU_DEP_1)
	v_cndmask_b32_e32 v19, v19, v21, vcc_lo
.LBB43_67:
	s_or_b32 exec_lo, exec_lo, s12
.LBB43_68:
	s_delay_alu instid0(SALU_CYCLE_1) | instskip(SKIP_2) | instid1(VALU_DEP_2)
	s_or_b32 exec_lo, exec_lo, s13
	v_or_b32_e32 v44, 0xa00, v0
	v_dual_mov_b32 v21, v33 :: v_dual_mov_b32 v22, v34
	v_cmp_gt_u32_e64 s12, s52, v44
	s_delay_alu instid0(VALU_DEP_1)
	s_and_saveexec_b32 s14, s12
	s_cbranch_execz .LBB43_74
; %bb.69:
	v_add_co_u32 v23, s13, s40, v44
	s_delay_alu instid0(VALU_DEP_1) | instskip(SKIP_1) | instid1(VALU_DEP_2)
	v_add_co_ci_u32_e64 v24, null, s41, 0, s13
	v_mov_b32_e32 v21, 0
	v_or_b32_e32 v22, s39, v24
	s_delay_alu instid0(VALU_DEP_1) | instskip(SKIP_1) | instid1(SALU_CYCLE_1)
	v_cmp_ne_u64_e32 vcc_lo, 0, v[21:22]
                                        ; implicit-def: $vgpr21_vgpr22
	s_and_saveexec_b32 s13, vcc_lo
	s_xor_b32 s15, exec_lo, s13
	s_cbranch_execz .LBB43_71
; %bb.70:
	v_cvt_f32_u32_e32 v21, s38
	v_cvt_f32_u32_e32 v22, s39
	s_sub_u32 s13, 0, s38
	s_subb_u32 s16, 0, s39
	s_delay_alu instid0(VALU_DEP_1) | instskip(NEXT) | instid1(VALU_DEP_1)
	v_fmamk_f32 v21, v22, 0x4f800000, v21
	v_rcp_f32_e32 v21, v21
	s_waitcnt_depctr 0xfff
	v_mul_f32_e32 v21, 0x5f7ffffc, v21
	s_delay_alu instid0(VALU_DEP_1) | instskip(NEXT) | instid1(VALU_DEP_1)
	v_mul_f32_e32 v22, 0x2f800000, v21
	v_trunc_f32_e32 v22, v22
	s_delay_alu instid0(VALU_DEP_1) | instskip(SKIP_1) | instid1(VALU_DEP_2)
	v_fmamk_f32 v21, v22, 0xcf800000, v21
	v_cvt_u32_f32_e32 v22, v22
	v_cvt_u32_f32_e32 v21, v21
	s_delay_alu instid0(VALU_DEP_2) | instskip(NEXT) | instid1(VALU_DEP_2)
	v_mul_lo_u32 v25, s13, v22
	v_mul_hi_u32 v26, s13, v21
	v_mul_lo_u32 v27, s16, v21
	s_delay_alu instid0(VALU_DEP_2) | instskip(SKIP_1) | instid1(VALU_DEP_2)
	v_add_nc_u32_e32 v25, v26, v25
	v_mul_lo_u32 v26, s13, v21
	v_add_nc_u32_e32 v25, v25, v27
	s_delay_alu instid0(VALU_DEP_2) | instskip(NEXT) | instid1(VALU_DEP_2)
	v_mul_hi_u32 v27, v21, v26
	v_mul_lo_u32 v28, v21, v25
	v_mul_hi_u32 v29, v21, v25
	v_mul_hi_u32 v30, v22, v26
	v_mul_lo_u32 v26, v22, v26
	v_mul_hi_u32 v31, v22, v25
	v_mul_lo_u32 v25, v22, v25
	v_add_co_u32 v27, vcc_lo, v27, v28
	v_add_co_ci_u32_e32 v28, vcc_lo, 0, v29, vcc_lo
	s_delay_alu instid0(VALU_DEP_2) | instskip(NEXT) | instid1(VALU_DEP_2)
	v_add_co_u32 v26, vcc_lo, v27, v26
	v_add_co_ci_u32_e32 v26, vcc_lo, v28, v30, vcc_lo
	v_add_co_ci_u32_e32 v27, vcc_lo, 0, v31, vcc_lo
	s_delay_alu instid0(VALU_DEP_2) | instskip(NEXT) | instid1(VALU_DEP_2)
	v_add_co_u32 v25, vcc_lo, v26, v25
	v_add_co_ci_u32_e32 v26, vcc_lo, 0, v27, vcc_lo
	s_delay_alu instid0(VALU_DEP_2) | instskip(NEXT) | instid1(VALU_DEP_2)
	v_add_co_u32 v21, vcc_lo, v21, v25
	v_add_co_ci_u32_e32 v22, vcc_lo, v22, v26, vcc_lo
	s_delay_alu instid0(VALU_DEP_2) | instskip(SKIP_1) | instid1(VALU_DEP_3)
	v_mul_hi_u32 v25, s13, v21
	v_mul_lo_u32 v27, s16, v21
	v_mul_lo_u32 v26, s13, v22
	s_delay_alu instid0(VALU_DEP_1) | instskip(SKIP_1) | instid1(VALU_DEP_2)
	v_add_nc_u32_e32 v25, v25, v26
	v_mul_lo_u32 v26, s13, v21
	v_add_nc_u32_e32 v25, v25, v27
	s_delay_alu instid0(VALU_DEP_2) | instskip(NEXT) | instid1(VALU_DEP_2)
	v_mul_hi_u32 v27, v21, v26
	v_mul_lo_u32 v28, v21, v25
	v_mul_hi_u32 v29, v21, v25
	v_mul_hi_u32 v30, v22, v26
	v_mul_lo_u32 v26, v22, v26
	v_mul_hi_u32 v31, v22, v25
	v_mul_lo_u32 v25, v22, v25
	v_add_co_u32 v27, vcc_lo, v27, v28
	v_add_co_ci_u32_e32 v28, vcc_lo, 0, v29, vcc_lo
	s_delay_alu instid0(VALU_DEP_2) | instskip(NEXT) | instid1(VALU_DEP_2)
	v_add_co_u32 v26, vcc_lo, v27, v26
	v_add_co_ci_u32_e32 v26, vcc_lo, v28, v30, vcc_lo
	v_add_co_ci_u32_e32 v27, vcc_lo, 0, v31, vcc_lo
	s_delay_alu instid0(VALU_DEP_2) | instskip(NEXT) | instid1(VALU_DEP_2)
	v_add_co_u32 v25, vcc_lo, v26, v25
	v_add_co_ci_u32_e32 v26, vcc_lo, 0, v27, vcc_lo
	s_delay_alu instid0(VALU_DEP_2) | instskip(NEXT) | instid1(VALU_DEP_2)
	v_add_co_u32 v27, vcc_lo, v21, v25
	v_add_co_ci_u32_e32 v29, vcc_lo, v22, v26, vcc_lo
	s_delay_alu instid0(VALU_DEP_2) | instskip(SKIP_1) | instid1(VALU_DEP_3)
	v_mul_hi_u32 v30, v23, v27
	v_mad_u64_u32 v[25:26], null, v24, v27, 0
	v_mad_u64_u32 v[21:22], null, v23, v29, 0
	;; [unrolled: 1-line block ×3, first 2 shown]
	s_delay_alu instid0(VALU_DEP_2) | instskip(NEXT) | instid1(VALU_DEP_3)
	v_add_co_u32 v21, vcc_lo, v30, v21
	v_add_co_ci_u32_e32 v22, vcc_lo, 0, v22, vcc_lo
	s_delay_alu instid0(VALU_DEP_2) | instskip(NEXT) | instid1(VALU_DEP_2)
	v_add_co_u32 v21, vcc_lo, v21, v25
	v_add_co_ci_u32_e32 v21, vcc_lo, v22, v26, vcc_lo
	v_add_co_ci_u32_e32 v22, vcc_lo, 0, v28, vcc_lo
	s_delay_alu instid0(VALU_DEP_2) | instskip(NEXT) | instid1(VALU_DEP_2)
	v_add_co_u32 v25, vcc_lo, v21, v27
	v_add_co_ci_u32_e32 v26, vcc_lo, 0, v22, vcc_lo
	s_delay_alu instid0(VALU_DEP_2) | instskip(SKIP_1) | instid1(VALU_DEP_3)
	v_mul_lo_u32 v27, s39, v25
	v_mad_u64_u32 v[21:22], null, s38, v25, 0
	v_mul_lo_u32 v28, s38, v26
	s_delay_alu instid0(VALU_DEP_2) | instskip(NEXT) | instid1(VALU_DEP_2)
	v_sub_co_u32 v21, vcc_lo, v23, v21
	v_add3_u32 v22, v22, v28, v27
	s_delay_alu instid0(VALU_DEP_1) | instskip(NEXT) | instid1(VALU_DEP_1)
	v_sub_nc_u32_e32 v27, v24, v22
	v_subrev_co_ci_u32_e64 v23, s13, s39, v27, vcc_lo
	v_add_co_u32 v27, s13, v25, 2
	s_delay_alu instid0(VALU_DEP_1) | instskip(SKIP_3) | instid1(VALU_DEP_3)
	v_add_co_ci_u32_e64 v28, s13, 0, v26, s13
	v_sub_co_u32 v29, s13, v21, s38
	v_sub_co_ci_u32_e32 v22, vcc_lo, v24, v22, vcc_lo
	v_subrev_co_ci_u32_e64 v23, s13, 0, v23, s13
	v_cmp_le_u32_e32 vcc_lo, s38, v29
	s_delay_alu instid0(VALU_DEP_3) | instskip(SKIP_1) | instid1(VALU_DEP_4)
	v_cmp_eq_u32_e64 s13, s39, v22
	v_cndmask_b32_e64 v24, 0, -1, vcc_lo
	v_cmp_le_u32_e32 vcc_lo, s39, v23
	v_cndmask_b32_e64 v29, 0, -1, vcc_lo
	v_cmp_le_u32_e32 vcc_lo, s38, v21
	;; [unrolled: 2-line block ×3, first 2 shown]
	v_cndmask_b32_e64 v30, 0, -1, vcc_lo
	v_cmp_eq_u32_e32 vcc_lo, s39, v23
	s_delay_alu instid0(VALU_DEP_2) | instskip(SKIP_3) | instid1(VALU_DEP_3)
	v_cndmask_b32_e64 v21, v30, v21, s13
	v_cndmask_b32_e32 v23, v29, v24, vcc_lo
	v_add_co_u32 v24, vcc_lo, v25, 1
	v_add_co_ci_u32_e32 v29, vcc_lo, 0, v26, vcc_lo
	v_cmp_ne_u32_e32 vcc_lo, 0, v23
	s_delay_alu instid0(VALU_DEP_2) | instskip(SKIP_1) | instid1(VALU_DEP_2)
	v_dual_cndmask_b32 v22, v29, v28 :: v_dual_cndmask_b32 v23, v24, v27
	v_cmp_ne_u32_e32 vcc_lo, 0, v21
	v_dual_cndmask_b32 v22, v26, v22 :: v_dual_cndmask_b32 v21, v25, v23
                                        ; implicit-def: $vgpr23
.LBB43_71:
	s_and_not1_saveexec_b32 s13, s15
	s_cbranch_execz .LBB43_73
; %bb.72:
	v_cvt_f32_u32_e32 v21, s38
	s_sub_i32 s15, 0, s38
	s_delay_alu instid0(VALU_DEP_1) | instskip(SKIP_2) | instid1(VALU_DEP_1)
	v_rcp_iflag_f32_e32 v21, v21
	s_waitcnt_depctr 0xfff
	v_mul_f32_e32 v21, 0x4f7ffffe, v21
	v_cvt_u32_f32_e32 v21, v21
	s_delay_alu instid0(VALU_DEP_1) | instskip(NEXT) | instid1(VALU_DEP_1)
	v_mul_lo_u32 v22, s15, v21
	v_mul_hi_u32 v22, v21, v22
	s_delay_alu instid0(VALU_DEP_1) | instskip(NEXT) | instid1(VALU_DEP_1)
	v_add_nc_u32_e32 v21, v21, v22
	v_mul_hi_u32 v21, v23, v21
	s_delay_alu instid0(VALU_DEP_1) | instskip(NEXT) | instid1(VALU_DEP_1)
	v_mul_lo_u32 v22, v21, s38
	v_sub_nc_u32_e32 v22, v23, v22
	v_add_nc_u32_e32 v23, 1, v21
	s_delay_alu instid0(VALU_DEP_2) | instskip(SKIP_1) | instid1(VALU_DEP_2)
	v_subrev_nc_u32_e32 v24, s38, v22
	v_cmp_le_u32_e32 vcc_lo, s38, v22
	v_dual_cndmask_b32 v22, v22, v24 :: v_dual_cndmask_b32 v21, v21, v23
	s_delay_alu instid0(VALU_DEP_1) | instskip(NEXT) | instid1(VALU_DEP_2)
	v_cmp_le_u32_e32 vcc_lo, s38, v22
	v_dual_mov_b32 v22, 0 :: v_dual_add_nc_u32 v23, 1, v21
	s_delay_alu instid0(VALU_DEP_1)
	v_cndmask_b32_e32 v21, v21, v23, vcc_lo
.LBB43_73:
	s_or_b32 exec_lo, exec_lo, s13
.LBB43_74:
	s_delay_alu instid0(SALU_CYCLE_1) | instskip(SKIP_2) | instid1(VALU_DEP_2)
	s_or_b32 exec_lo, exec_lo, s14
	v_or_b32_e32 v45, 0xb00, v0
	v_dual_mov_b32 v23, v33 :: v_dual_mov_b32 v24, v34
	v_cmp_gt_u32_e64 s13, s52, v45
	s_delay_alu instid0(VALU_DEP_1)
	s_and_saveexec_b32 s15, s13
	s_cbranch_execz .LBB43_80
; %bb.75:
	v_add_co_u32 v25, s14, s40, v45
	s_delay_alu instid0(VALU_DEP_1) | instskip(SKIP_1) | instid1(VALU_DEP_2)
	v_add_co_ci_u32_e64 v26, null, s41, 0, s14
	v_mov_b32_e32 v23, 0
	v_or_b32_e32 v24, s39, v26
	s_delay_alu instid0(VALU_DEP_1) | instskip(SKIP_1) | instid1(SALU_CYCLE_1)
	v_cmp_ne_u64_e32 vcc_lo, 0, v[23:24]
                                        ; implicit-def: $vgpr23_vgpr24
	s_and_saveexec_b32 s14, vcc_lo
	s_xor_b32 s16, exec_lo, s14
	s_cbranch_execz .LBB43_77
; %bb.76:
	v_cvt_f32_u32_e32 v23, s38
	v_cvt_f32_u32_e32 v24, s39
	s_sub_u32 s14, 0, s38
	s_subb_u32 s17, 0, s39
	s_delay_alu instid0(VALU_DEP_1) | instskip(NEXT) | instid1(VALU_DEP_1)
	v_fmamk_f32 v23, v24, 0x4f800000, v23
	v_rcp_f32_e32 v23, v23
	s_waitcnt_depctr 0xfff
	v_mul_f32_e32 v23, 0x5f7ffffc, v23
	s_delay_alu instid0(VALU_DEP_1) | instskip(NEXT) | instid1(VALU_DEP_1)
	v_mul_f32_e32 v24, 0x2f800000, v23
	v_trunc_f32_e32 v24, v24
	s_delay_alu instid0(VALU_DEP_1) | instskip(SKIP_1) | instid1(VALU_DEP_2)
	v_fmamk_f32 v23, v24, 0xcf800000, v23
	v_cvt_u32_f32_e32 v24, v24
	v_cvt_u32_f32_e32 v23, v23
	s_delay_alu instid0(VALU_DEP_2) | instskip(NEXT) | instid1(VALU_DEP_2)
	v_mul_lo_u32 v27, s14, v24
	v_mul_hi_u32 v28, s14, v23
	v_mul_lo_u32 v29, s17, v23
	s_delay_alu instid0(VALU_DEP_2) | instskip(SKIP_1) | instid1(VALU_DEP_2)
	v_add_nc_u32_e32 v27, v28, v27
	v_mul_lo_u32 v28, s14, v23
	v_add_nc_u32_e32 v27, v27, v29
	s_delay_alu instid0(VALU_DEP_2) | instskip(NEXT) | instid1(VALU_DEP_2)
	v_mul_hi_u32 v29, v23, v28
	v_mul_lo_u32 v30, v23, v27
	v_mul_hi_u32 v31, v23, v27
	v_mul_hi_u32 v32, v24, v28
	v_mul_lo_u32 v28, v24, v28
	v_mul_hi_u32 v46, v24, v27
	v_mul_lo_u32 v27, v24, v27
	v_add_co_u32 v29, vcc_lo, v29, v30
	v_add_co_ci_u32_e32 v30, vcc_lo, 0, v31, vcc_lo
	s_delay_alu instid0(VALU_DEP_2) | instskip(NEXT) | instid1(VALU_DEP_2)
	v_add_co_u32 v28, vcc_lo, v29, v28
	v_add_co_ci_u32_e32 v28, vcc_lo, v30, v32, vcc_lo
	v_add_co_ci_u32_e32 v29, vcc_lo, 0, v46, vcc_lo
	s_delay_alu instid0(VALU_DEP_2) | instskip(NEXT) | instid1(VALU_DEP_2)
	v_add_co_u32 v27, vcc_lo, v28, v27
	v_add_co_ci_u32_e32 v28, vcc_lo, 0, v29, vcc_lo
	s_delay_alu instid0(VALU_DEP_2) | instskip(NEXT) | instid1(VALU_DEP_2)
	v_add_co_u32 v23, vcc_lo, v23, v27
	v_add_co_ci_u32_e32 v24, vcc_lo, v24, v28, vcc_lo
	s_delay_alu instid0(VALU_DEP_2) | instskip(SKIP_1) | instid1(VALU_DEP_3)
	v_mul_hi_u32 v27, s14, v23
	v_mul_lo_u32 v29, s17, v23
	v_mul_lo_u32 v28, s14, v24
	s_delay_alu instid0(VALU_DEP_1) | instskip(SKIP_1) | instid1(VALU_DEP_2)
	v_add_nc_u32_e32 v27, v27, v28
	v_mul_lo_u32 v28, s14, v23
	v_add_nc_u32_e32 v27, v27, v29
	s_delay_alu instid0(VALU_DEP_2) | instskip(NEXT) | instid1(VALU_DEP_2)
	v_mul_hi_u32 v29, v23, v28
	v_mul_lo_u32 v30, v23, v27
	v_mul_hi_u32 v31, v23, v27
	v_mul_hi_u32 v32, v24, v28
	v_mul_lo_u32 v28, v24, v28
	v_mul_hi_u32 v46, v24, v27
	v_mul_lo_u32 v27, v24, v27
	v_add_co_u32 v29, vcc_lo, v29, v30
	v_add_co_ci_u32_e32 v30, vcc_lo, 0, v31, vcc_lo
	s_delay_alu instid0(VALU_DEP_2) | instskip(NEXT) | instid1(VALU_DEP_2)
	v_add_co_u32 v28, vcc_lo, v29, v28
	v_add_co_ci_u32_e32 v28, vcc_lo, v30, v32, vcc_lo
	v_add_co_ci_u32_e32 v29, vcc_lo, 0, v46, vcc_lo
	s_delay_alu instid0(VALU_DEP_2) | instskip(NEXT) | instid1(VALU_DEP_2)
	v_add_co_u32 v27, vcc_lo, v28, v27
	v_add_co_ci_u32_e32 v28, vcc_lo, 0, v29, vcc_lo
	s_delay_alu instid0(VALU_DEP_2) | instskip(NEXT) | instid1(VALU_DEP_2)
	v_add_co_u32 v29, vcc_lo, v23, v27
	v_add_co_ci_u32_e32 v31, vcc_lo, v24, v28, vcc_lo
	s_delay_alu instid0(VALU_DEP_2) | instskip(SKIP_1) | instid1(VALU_DEP_3)
	v_mul_hi_u32 v32, v25, v29
	v_mad_u64_u32 v[27:28], null, v26, v29, 0
	v_mad_u64_u32 v[23:24], null, v25, v31, 0
	;; [unrolled: 1-line block ×3, first 2 shown]
	s_delay_alu instid0(VALU_DEP_2) | instskip(NEXT) | instid1(VALU_DEP_3)
	v_add_co_u32 v23, vcc_lo, v32, v23
	v_add_co_ci_u32_e32 v24, vcc_lo, 0, v24, vcc_lo
	s_delay_alu instid0(VALU_DEP_2) | instskip(NEXT) | instid1(VALU_DEP_2)
	v_add_co_u32 v23, vcc_lo, v23, v27
	v_add_co_ci_u32_e32 v23, vcc_lo, v24, v28, vcc_lo
	v_add_co_ci_u32_e32 v24, vcc_lo, 0, v30, vcc_lo
	s_delay_alu instid0(VALU_DEP_2) | instskip(NEXT) | instid1(VALU_DEP_2)
	v_add_co_u32 v27, vcc_lo, v23, v29
	v_add_co_ci_u32_e32 v28, vcc_lo, 0, v24, vcc_lo
	s_delay_alu instid0(VALU_DEP_2) | instskip(SKIP_1) | instid1(VALU_DEP_3)
	v_mul_lo_u32 v29, s39, v27
	v_mad_u64_u32 v[23:24], null, s38, v27, 0
	v_mul_lo_u32 v30, s38, v28
	s_delay_alu instid0(VALU_DEP_2) | instskip(NEXT) | instid1(VALU_DEP_2)
	v_sub_co_u32 v23, vcc_lo, v25, v23
	v_add3_u32 v24, v24, v30, v29
	s_delay_alu instid0(VALU_DEP_1) | instskip(NEXT) | instid1(VALU_DEP_1)
	v_sub_nc_u32_e32 v29, v26, v24
	v_subrev_co_ci_u32_e64 v25, s14, s39, v29, vcc_lo
	v_add_co_u32 v29, s14, v27, 2
	s_delay_alu instid0(VALU_DEP_1) | instskip(SKIP_3) | instid1(VALU_DEP_3)
	v_add_co_ci_u32_e64 v30, s14, 0, v28, s14
	v_sub_co_u32 v31, s14, v23, s38
	v_sub_co_ci_u32_e32 v24, vcc_lo, v26, v24, vcc_lo
	v_subrev_co_ci_u32_e64 v25, s14, 0, v25, s14
	v_cmp_le_u32_e32 vcc_lo, s38, v31
	s_delay_alu instid0(VALU_DEP_3) | instskip(SKIP_1) | instid1(VALU_DEP_4)
	v_cmp_eq_u32_e64 s14, s39, v24
	v_cndmask_b32_e64 v26, 0, -1, vcc_lo
	v_cmp_le_u32_e32 vcc_lo, s39, v25
	v_cndmask_b32_e64 v31, 0, -1, vcc_lo
	v_cmp_le_u32_e32 vcc_lo, s38, v23
	;; [unrolled: 2-line block ×3, first 2 shown]
	v_cndmask_b32_e64 v32, 0, -1, vcc_lo
	v_cmp_eq_u32_e32 vcc_lo, s39, v25
	s_delay_alu instid0(VALU_DEP_2) | instskip(SKIP_3) | instid1(VALU_DEP_3)
	v_cndmask_b32_e64 v23, v32, v23, s14
	v_cndmask_b32_e32 v25, v31, v26, vcc_lo
	v_add_co_u32 v26, vcc_lo, v27, 1
	v_add_co_ci_u32_e32 v31, vcc_lo, 0, v28, vcc_lo
	v_cmp_ne_u32_e32 vcc_lo, 0, v25
	s_delay_alu instid0(VALU_DEP_2) | instskip(SKIP_1) | instid1(VALU_DEP_2)
	v_dual_cndmask_b32 v24, v31, v30 :: v_dual_cndmask_b32 v25, v26, v29
	v_cmp_ne_u32_e32 vcc_lo, 0, v23
	v_dual_cndmask_b32 v24, v28, v24 :: v_dual_cndmask_b32 v23, v27, v25
                                        ; implicit-def: $vgpr25
.LBB43_77:
	s_and_not1_saveexec_b32 s14, s16
	s_cbranch_execz .LBB43_79
; %bb.78:
	v_cvt_f32_u32_e32 v23, s38
	s_sub_i32 s16, 0, s38
	s_delay_alu instid0(VALU_DEP_1) | instskip(SKIP_2) | instid1(VALU_DEP_1)
	v_rcp_iflag_f32_e32 v23, v23
	s_waitcnt_depctr 0xfff
	v_mul_f32_e32 v23, 0x4f7ffffe, v23
	v_cvt_u32_f32_e32 v23, v23
	s_delay_alu instid0(VALU_DEP_1) | instskip(NEXT) | instid1(VALU_DEP_1)
	v_mul_lo_u32 v24, s16, v23
	v_mul_hi_u32 v24, v23, v24
	s_delay_alu instid0(VALU_DEP_1) | instskip(NEXT) | instid1(VALU_DEP_1)
	v_add_nc_u32_e32 v23, v23, v24
	v_mul_hi_u32 v23, v25, v23
	s_delay_alu instid0(VALU_DEP_1) | instskip(NEXT) | instid1(VALU_DEP_1)
	v_mul_lo_u32 v24, v23, s38
	v_sub_nc_u32_e32 v24, v25, v24
	v_add_nc_u32_e32 v25, 1, v23
	s_delay_alu instid0(VALU_DEP_2) | instskip(SKIP_1) | instid1(VALU_DEP_2)
	v_subrev_nc_u32_e32 v26, s38, v24
	v_cmp_le_u32_e32 vcc_lo, s38, v24
	v_dual_cndmask_b32 v24, v24, v26 :: v_dual_cndmask_b32 v23, v23, v25
	s_delay_alu instid0(VALU_DEP_1) | instskip(NEXT) | instid1(VALU_DEP_2)
	v_cmp_le_u32_e32 vcc_lo, s38, v24
	v_dual_mov_b32 v24, 0 :: v_dual_add_nc_u32 v25, 1, v23
	s_delay_alu instid0(VALU_DEP_1)
	v_cndmask_b32_e32 v23, v23, v25, vcc_lo
.LBB43_79:
	s_or_b32 exec_lo, exec_lo, s14
.LBB43_80:
	s_delay_alu instid0(SALU_CYCLE_1) | instskip(SKIP_2) | instid1(VALU_DEP_2)
	s_or_b32 exec_lo, exec_lo, s15
	v_or_b32_e32 v46, 0xc00, v0
	v_dual_mov_b32 v25, v33 :: v_dual_mov_b32 v26, v34
	v_cmp_gt_u32_e64 s14, s52, v46
	s_delay_alu instid0(VALU_DEP_1)
	s_and_saveexec_b32 s16, s14
	s_cbranch_execz .LBB43_86
; %bb.81:
	v_add_co_u32 v27, s15, s40, v46
	s_delay_alu instid0(VALU_DEP_1) | instskip(SKIP_1) | instid1(VALU_DEP_2)
	v_add_co_ci_u32_e64 v28, null, s41, 0, s15
	v_mov_b32_e32 v25, 0
	v_or_b32_e32 v26, s39, v28
	s_delay_alu instid0(VALU_DEP_1) | instskip(SKIP_1) | instid1(SALU_CYCLE_1)
	v_cmp_ne_u64_e32 vcc_lo, 0, v[25:26]
                                        ; implicit-def: $vgpr25_vgpr26
	s_and_saveexec_b32 s15, vcc_lo
	s_xor_b32 s17, exec_lo, s15
	s_cbranch_execz .LBB43_83
; %bb.82:
	v_cvt_f32_u32_e32 v25, s38
	v_cvt_f32_u32_e32 v26, s39
	s_sub_u32 s15, 0, s38
	s_subb_u32 s18, 0, s39
	s_delay_alu instid0(VALU_DEP_1) | instskip(NEXT) | instid1(VALU_DEP_1)
	v_fmamk_f32 v25, v26, 0x4f800000, v25
	v_rcp_f32_e32 v25, v25
	s_waitcnt_depctr 0xfff
	v_mul_f32_e32 v25, 0x5f7ffffc, v25
	s_delay_alu instid0(VALU_DEP_1) | instskip(NEXT) | instid1(VALU_DEP_1)
	v_mul_f32_e32 v26, 0x2f800000, v25
	v_trunc_f32_e32 v26, v26
	s_delay_alu instid0(VALU_DEP_1) | instskip(SKIP_1) | instid1(VALU_DEP_2)
	v_fmamk_f32 v25, v26, 0xcf800000, v25
	v_cvt_u32_f32_e32 v26, v26
	v_cvt_u32_f32_e32 v25, v25
	s_delay_alu instid0(VALU_DEP_2) | instskip(NEXT) | instid1(VALU_DEP_2)
	v_mul_lo_u32 v29, s15, v26
	v_mul_hi_u32 v30, s15, v25
	v_mul_lo_u32 v31, s18, v25
	s_delay_alu instid0(VALU_DEP_2) | instskip(SKIP_1) | instid1(VALU_DEP_2)
	v_add_nc_u32_e32 v29, v30, v29
	v_mul_lo_u32 v30, s15, v25
	v_add_nc_u32_e32 v29, v29, v31
	s_delay_alu instid0(VALU_DEP_2) | instskip(NEXT) | instid1(VALU_DEP_2)
	v_mul_hi_u32 v31, v25, v30
	v_mul_lo_u32 v32, v25, v29
	v_mul_hi_u32 v47, v25, v29
	v_mul_hi_u32 v48, v26, v30
	v_mul_lo_u32 v30, v26, v30
	v_mul_hi_u32 v49, v26, v29
	v_mul_lo_u32 v29, v26, v29
	v_add_co_u32 v31, vcc_lo, v31, v32
	v_add_co_ci_u32_e32 v32, vcc_lo, 0, v47, vcc_lo
	s_delay_alu instid0(VALU_DEP_2) | instskip(NEXT) | instid1(VALU_DEP_2)
	v_add_co_u32 v30, vcc_lo, v31, v30
	v_add_co_ci_u32_e32 v30, vcc_lo, v32, v48, vcc_lo
	v_add_co_ci_u32_e32 v31, vcc_lo, 0, v49, vcc_lo
	s_delay_alu instid0(VALU_DEP_2) | instskip(NEXT) | instid1(VALU_DEP_2)
	v_add_co_u32 v29, vcc_lo, v30, v29
	v_add_co_ci_u32_e32 v30, vcc_lo, 0, v31, vcc_lo
	s_delay_alu instid0(VALU_DEP_2) | instskip(NEXT) | instid1(VALU_DEP_2)
	v_add_co_u32 v25, vcc_lo, v25, v29
	v_add_co_ci_u32_e32 v26, vcc_lo, v26, v30, vcc_lo
	s_delay_alu instid0(VALU_DEP_2) | instskip(SKIP_1) | instid1(VALU_DEP_3)
	v_mul_hi_u32 v29, s15, v25
	v_mul_lo_u32 v31, s18, v25
	v_mul_lo_u32 v30, s15, v26
	s_delay_alu instid0(VALU_DEP_1) | instskip(SKIP_1) | instid1(VALU_DEP_2)
	v_add_nc_u32_e32 v29, v29, v30
	v_mul_lo_u32 v30, s15, v25
	v_add_nc_u32_e32 v29, v29, v31
	s_delay_alu instid0(VALU_DEP_2) | instskip(NEXT) | instid1(VALU_DEP_2)
	v_mul_hi_u32 v31, v25, v30
	v_mul_lo_u32 v32, v25, v29
	v_mul_hi_u32 v47, v25, v29
	v_mul_hi_u32 v48, v26, v30
	v_mul_lo_u32 v30, v26, v30
	v_mul_hi_u32 v49, v26, v29
	v_mul_lo_u32 v29, v26, v29
	v_add_co_u32 v31, vcc_lo, v31, v32
	v_add_co_ci_u32_e32 v32, vcc_lo, 0, v47, vcc_lo
	s_delay_alu instid0(VALU_DEP_2) | instskip(NEXT) | instid1(VALU_DEP_2)
	v_add_co_u32 v30, vcc_lo, v31, v30
	v_add_co_ci_u32_e32 v30, vcc_lo, v32, v48, vcc_lo
	v_add_co_ci_u32_e32 v31, vcc_lo, 0, v49, vcc_lo
	s_delay_alu instid0(VALU_DEP_2) | instskip(NEXT) | instid1(VALU_DEP_2)
	v_add_co_u32 v29, vcc_lo, v30, v29
	v_add_co_ci_u32_e32 v30, vcc_lo, 0, v31, vcc_lo
	s_delay_alu instid0(VALU_DEP_2) | instskip(NEXT) | instid1(VALU_DEP_2)
	v_add_co_u32 v31, vcc_lo, v25, v29
	v_add_co_ci_u32_e32 v47, vcc_lo, v26, v30, vcc_lo
	s_delay_alu instid0(VALU_DEP_2) | instskip(SKIP_1) | instid1(VALU_DEP_3)
	v_mul_hi_u32 v48, v27, v31
	v_mad_u64_u32 v[29:30], null, v28, v31, 0
	v_mad_u64_u32 v[25:26], null, v27, v47, 0
	;; [unrolled: 1-line block ×3, first 2 shown]
	s_delay_alu instid0(VALU_DEP_2) | instskip(NEXT) | instid1(VALU_DEP_3)
	v_add_co_u32 v25, vcc_lo, v48, v25
	v_add_co_ci_u32_e32 v26, vcc_lo, 0, v26, vcc_lo
	s_delay_alu instid0(VALU_DEP_2) | instskip(NEXT) | instid1(VALU_DEP_2)
	v_add_co_u32 v25, vcc_lo, v25, v29
	v_add_co_ci_u32_e32 v25, vcc_lo, v26, v30, vcc_lo
	v_add_co_ci_u32_e32 v26, vcc_lo, 0, v32, vcc_lo
	s_delay_alu instid0(VALU_DEP_2) | instskip(NEXT) | instid1(VALU_DEP_2)
	v_add_co_u32 v29, vcc_lo, v25, v31
	v_add_co_ci_u32_e32 v30, vcc_lo, 0, v26, vcc_lo
	s_delay_alu instid0(VALU_DEP_2) | instskip(SKIP_1) | instid1(VALU_DEP_3)
	v_mul_lo_u32 v31, s39, v29
	v_mad_u64_u32 v[25:26], null, s38, v29, 0
	v_mul_lo_u32 v32, s38, v30
	s_delay_alu instid0(VALU_DEP_2) | instskip(NEXT) | instid1(VALU_DEP_2)
	v_sub_co_u32 v25, vcc_lo, v27, v25
	v_add3_u32 v26, v26, v32, v31
	s_delay_alu instid0(VALU_DEP_1) | instskip(NEXT) | instid1(VALU_DEP_1)
	v_sub_nc_u32_e32 v31, v28, v26
	v_subrev_co_ci_u32_e64 v27, s15, s39, v31, vcc_lo
	v_add_co_u32 v31, s15, v29, 2
	s_delay_alu instid0(VALU_DEP_1) | instskip(SKIP_3) | instid1(VALU_DEP_3)
	v_add_co_ci_u32_e64 v32, s15, 0, v30, s15
	v_sub_co_u32 v47, s15, v25, s38
	v_sub_co_ci_u32_e32 v26, vcc_lo, v28, v26, vcc_lo
	v_subrev_co_ci_u32_e64 v27, s15, 0, v27, s15
	v_cmp_le_u32_e32 vcc_lo, s38, v47
	s_delay_alu instid0(VALU_DEP_3) | instskip(SKIP_1) | instid1(VALU_DEP_4)
	v_cmp_eq_u32_e64 s15, s39, v26
	v_cndmask_b32_e64 v28, 0, -1, vcc_lo
	v_cmp_le_u32_e32 vcc_lo, s39, v27
	v_cndmask_b32_e64 v47, 0, -1, vcc_lo
	v_cmp_le_u32_e32 vcc_lo, s38, v25
	;; [unrolled: 2-line block ×3, first 2 shown]
	v_cndmask_b32_e64 v48, 0, -1, vcc_lo
	v_cmp_eq_u32_e32 vcc_lo, s39, v27
	s_delay_alu instid0(VALU_DEP_2) | instskip(SKIP_3) | instid1(VALU_DEP_3)
	v_cndmask_b32_e64 v25, v48, v25, s15
	v_cndmask_b32_e32 v27, v47, v28, vcc_lo
	v_add_co_u32 v28, vcc_lo, v29, 1
	v_add_co_ci_u32_e32 v47, vcc_lo, 0, v30, vcc_lo
	v_cmp_ne_u32_e32 vcc_lo, 0, v27
	s_delay_alu instid0(VALU_DEP_2) | instskip(SKIP_1) | instid1(VALU_DEP_2)
	v_dual_cndmask_b32 v26, v47, v32 :: v_dual_cndmask_b32 v27, v28, v31
	v_cmp_ne_u32_e32 vcc_lo, 0, v25
	v_dual_cndmask_b32 v26, v30, v26 :: v_dual_cndmask_b32 v25, v29, v27
                                        ; implicit-def: $vgpr27
.LBB43_83:
	s_and_not1_saveexec_b32 s15, s17
	s_cbranch_execz .LBB43_85
; %bb.84:
	v_cvt_f32_u32_e32 v25, s38
	s_sub_i32 s17, 0, s38
	s_delay_alu instid0(VALU_DEP_1) | instskip(SKIP_2) | instid1(VALU_DEP_1)
	v_rcp_iflag_f32_e32 v25, v25
	s_waitcnt_depctr 0xfff
	v_mul_f32_e32 v25, 0x4f7ffffe, v25
	v_cvt_u32_f32_e32 v25, v25
	s_delay_alu instid0(VALU_DEP_1) | instskip(NEXT) | instid1(VALU_DEP_1)
	v_mul_lo_u32 v26, s17, v25
	v_mul_hi_u32 v26, v25, v26
	s_delay_alu instid0(VALU_DEP_1) | instskip(NEXT) | instid1(VALU_DEP_1)
	v_add_nc_u32_e32 v25, v25, v26
	v_mul_hi_u32 v25, v27, v25
	s_delay_alu instid0(VALU_DEP_1) | instskip(NEXT) | instid1(VALU_DEP_1)
	v_mul_lo_u32 v26, v25, s38
	v_sub_nc_u32_e32 v26, v27, v26
	v_add_nc_u32_e32 v27, 1, v25
	s_delay_alu instid0(VALU_DEP_2) | instskip(SKIP_1) | instid1(VALU_DEP_2)
	v_subrev_nc_u32_e32 v28, s38, v26
	v_cmp_le_u32_e32 vcc_lo, s38, v26
	v_dual_cndmask_b32 v26, v26, v28 :: v_dual_cndmask_b32 v25, v25, v27
	s_delay_alu instid0(VALU_DEP_1) | instskip(NEXT) | instid1(VALU_DEP_2)
	v_cmp_le_u32_e32 vcc_lo, s38, v26
	v_dual_mov_b32 v26, 0 :: v_dual_add_nc_u32 v27, 1, v25
	s_delay_alu instid0(VALU_DEP_1)
	v_cndmask_b32_e32 v25, v25, v27, vcc_lo
.LBB43_85:
	s_or_b32 exec_lo, exec_lo, s15
.LBB43_86:
	s_delay_alu instid0(SALU_CYCLE_1) | instskip(SKIP_2) | instid1(VALU_DEP_2)
	s_or_b32 exec_lo, exec_lo, s16
	v_or_b32_e32 v47, 0xd00, v0
	v_dual_mov_b32 v27, v33 :: v_dual_mov_b32 v28, v34
	v_cmp_gt_u32_e64 s15, s52, v47
	s_delay_alu instid0(VALU_DEP_1)
	s_and_saveexec_b32 s17, s15
	s_cbranch_execz .LBB43_92
; %bb.87:
	v_add_co_u32 v29, s16, s40, v47
	s_delay_alu instid0(VALU_DEP_1) | instskip(SKIP_1) | instid1(VALU_DEP_2)
	v_add_co_ci_u32_e64 v30, null, s41, 0, s16
	v_mov_b32_e32 v27, 0
	v_or_b32_e32 v28, s39, v30
	s_delay_alu instid0(VALU_DEP_1) | instskip(SKIP_1) | instid1(SALU_CYCLE_1)
	v_cmp_ne_u64_e32 vcc_lo, 0, v[27:28]
                                        ; implicit-def: $vgpr27_vgpr28
	s_and_saveexec_b32 s16, vcc_lo
	s_xor_b32 s18, exec_lo, s16
	s_cbranch_execz .LBB43_89
; %bb.88:
	v_cvt_f32_u32_e32 v27, s38
	v_cvt_f32_u32_e32 v28, s39
	s_sub_u32 s16, 0, s38
	s_subb_u32 s19, 0, s39
	s_delay_alu instid0(VALU_DEP_1) | instskip(NEXT) | instid1(VALU_DEP_1)
	v_fmamk_f32 v27, v28, 0x4f800000, v27
	v_rcp_f32_e32 v27, v27
	s_waitcnt_depctr 0xfff
	v_mul_f32_e32 v27, 0x5f7ffffc, v27
	s_delay_alu instid0(VALU_DEP_1) | instskip(NEXT) | instid1(VALU_DEP_1)
	v_mul_f32_e32 v28, 0x2f800000, v27
	v_trunc_f32_e32 v28, v28
	s_delay_alu instid0(VALU_DEP_1) | instskip(SKIP_1) | instid1(VALU_DEP_2)
	v_fmamk_f32 v27, v28, 0xcf800000, v27
	v_cvt_u32_f32_e32 v28, v28
	v_cvt_u32_f32_e32 v27, v27
	s_delay_alu instid0(VALU_DEP_2) | instskip(NEXT) | instid1(VALU_DEP_2)
	v_mul_lo_u32 v31, s16, v28
	v_mul_hi_u32 v32, s16, v27
	v_mul_lo_u32 v48, s19, v27
	s_delay_alu instid0(VALU_DEP_2) | instskip(SKIP_1) | instid1(VALU_DEP_2)
	v_add_nc_u32_e32 v31, v32, v31
	v_mul_lo_u32 v32, s16, v27
	v_add_nc_u32_e32 v31, v31, v48
	s_delay_alu instid0(VALU_DEP_2) | instskip(NEXT) | instid1(VALU_DEP_2)
	v_mul_hi_u32 v48, v27, v32
	v_mul_lo_u32 v49, v27, v31
	v_mul_hi_u32 v50, v27, v31
	v_mul_hi_u32 v51, v28, v32
	v_mul_lo_u32 v32, v28, v32
	v_mul_hi_u32 v52, v28, v31
	v_mul_lo_u32 v31, v28, v31
	v_add_co_u32 v48, vcc_lo, v48, v49
	v_add_co_ci_u32_e32 v49, vcc_lo, 0, v50, vcc_lo
	s_delay_alu instid0(VALU_DEP_2) | instskip(NEXT) | instid1(VALU_DEP_2)
	v_add_co_u32 v32, vcc_lo, v48, v32
	v_add_co_ci_u32_e32 v32, vcc_lo, v49, v51, vcc_lo
	v_add_co_ci_u32_e32 v48, vcc_lo, 0, v52, vcc_lo
	s_delay_alu instid0(VALU_DEP_2) | instskip(NEXT) | instid1(VALU_DEP_2)
	v_add_co_u32 v31, vcc_lo, v32, v31
	v_add_co_ci_u32_e32 v32, vcc_lo, 0, v48, vcc_lo
	s_delay_alu instid0(VALU_DEP_2) | instskip(NEXT) | instid1(VALU_DEP_2)
	v_add_co_u32 v27, vcc_lo, v27, v31
	v_add_co_ci_u32_e32 v28, vcc_lo, v28, v32, vcc_lo
	s_delay_alu instid0(VALU_DEP_2) | instskip(SKIP_1) | instid1(VALU_DEP_3)
	v_mul_hi_u32 v31, s16, v27
	v_mul_lo_u32 v48, s19, v27
	v_mul_lo_u32 v32, s16, v28
	s_delay_alu instid0(VALU_DEP_1) | instskip(SKIP_1) | instid1(VALU_DEP_2)
	v_add_nc_u32_e32 v31, v31, v32
	v_mul_lo_u32 v32, s16, v27
	v_add_nc_u32_e32 v31, v31, v48
	s_delay_alu instid0(VALU_DEP_2) | instskip(NEXT) | instid1(VALU_DEP_2)
	v_mul_hi_u32 v48, v27, v32
	v_mul_lo_u32 v49, v27, v31
	v_mul_hi_u32 v50, v27, v31
	v_mul_hi_u32 v51, v28, v32
	v_mul_lo_u32 v32, v28, v32
	v_mul_hi_u32 v52, v28, v31
	v_mul_lo_u32 v31, v28, v31
	v_add_co_u32 v48, vcc_lo, v48, v49
	v_add_co_ci_u32_e32 v49, vcc_lo, 0, v50, vcc_lo
	s_delay_alu instid0(VALU_DEP_2) | instskip(NEXT) | instid1(VALU_DEP_2)
	v_add_co_u32 v32, vcc_lo, v48, v32
	v_add_co_ci_u32_e32 v32, vcc_lo, v49, v51, vcc_lo
	v_add_co_ci_u32_e32 v48, vcc_lo, 0, v52, vcc_lo
	s_delay_alu instid0(VALU_DEP_2) | instskip(NEXT) | instid1(VALU_DEP_2)
	v_add_co_u32 v31, vcc_lo, v32, v31
	v_add_co_ci_u32_e32 v32, vcc_lo, 0, v48, vcc_lo
	s_delay_alu instid0(VALU_DEP_2) | instskip(NEXT) | instid1(VALU_DEP_2)
	v_add_co_u32 v48, vcc_lo, v27, v31
	v_add_co_ci_u32_e32 v50, vcc_lo, v28, v32, vcc_lo
	s_delay_alu instid0(VALU_DEP_2) | instskip(SKIP_1) | instid1(VALU_DEP_3)
	v_mul_hi_u32 v51, v29, v48
	v_mad_u64_u32 v[31:32], null, v30, v48, 0
	v_mad_u64_u32 v[27:28], null, v29, v50, 0
	;; [unrolled: 1-line block ×3, first 2 shown]
	s_delay_alu instid0(VALU_DEP_2) | instskip(NEXT) | instid1(VALU_DEP_3)
	v_add_co_u32 v27, vcc_lo, v51, v27
	v_add_co_ci_u32_e32 v28, vcc_lo, 0, v28, vcc_lo
	s_delay_alu instid0(VALU_DEP_2) | instskip(NEXT) | instid1(VALU_DEP_2)
	v_add_co_u32 v27, vcc_lo, v27, v31
	v_add_co_ci_u32_e32 v27, vcc_lo, v28, v32, vcc_lo
	v_add_co_ci_u32_e32 v28, vcc_lo, 0, v49, vcc_lo
	s_delay_alu instid0(VALU_DEP_2) | instskip(NEXT) | instid1(VALU_DEP_2)
	v_add_co_u32 v31, vcc_lo, v27, v48
	v_add_co_ci_u32_e32 v32, vcc_lo, 0, v28, vcc_lo
	s_delay_alu instid0(VALU_DEP_2) | instskip(SKIP_1) | instid1(VALU_DEP_3)
	v_mul_lo_u32 v48, s39, v31
	v_mad_u64_u32 v[27:28], null, s38, v31, 0
	v_mul_lo_u32 v49, s38, v32
	s_delay_alu instid0(VALU_DEP_2) | instskip(NEXT) | instid1(VALU_DEP_2)
	v_sub_co_u32 v27, vcc_lo, v29, v27
	v_add3_u32 v28, v28, v49, v48
	s_delay_alu instid0(VALU_DEP_1) | instskip(NEXT) | instid1(VALU_DEP_1)
	v_sub_nc_u32_e32 v48, v30, v28
	v_subrev_co_ci_u32_e64 v29, s16, s39, v48, vcc_lo
	v_add_co_u32 v48, s16, v31, 2
	s_delay_alu instid0(VALU_DEP_1) | instskip(SKIP_3) | instid1(VALU_DEP_3)
	v_add_co_ci_u32_e64 v49, s16, 0, v32, s16
	v_sub_co_u32 v50, s16, v27, s38
	v_sub_co_ci_u32_e32 v28, vcc_lo, v30, v28, vcc_lo
	v_subrev_co_ci_u32_e64 v29, s16, 0, v29, s16
	v_cmp_le_u32_e32 vcc_lo, s38, v50
	s_delay_alu instid0(VALU_DEP_3) | instskip(SKIP_1) | instid1(VALU_DEP_4)
	v_cmp_eq_u32_e64 s16, s39, v28
	v_cndmask_b32_e64 v30, 0, -1, vcc_lo
	v_cmp_le_u32_e32 vcc_lo, s39, v29
	v_cndmask_b32_e64 v50, 0, -1, vcc_lo
	v_cmp_le_u32_e32 vcc_lo, s38, v27
	;; [unrolled: 2-line block ×3, first 2 shown]
	v_cndmask_b32_e64 v51, 0, -1, vcc_lo
	v_cmp_eq_u32_e32 vcc_lo, s39, v29
	s_delay_alu instid0(VALU_DEP_2) | instskip(SKIP_3) | instid1(VALU_DEP_3)
	v_cndmask_b32_e64 v27, v51, v27, s16
	v_cndmask_b32_e32 v29, v50, v30, vcc_lo
	v_add_co_u32 v30, vcc_lo, v31, 1
	v_add_co_ci_u32_e32 v50, vcc_lo, 0, v32, vcc_lo
	v_cmp_ne_u32_e32 vcc_lo, 0, v29
	s_delay_alu instid0(VALU_DEP_2) | instskip(NEXT) | instid1(VALU_DEP_4)
	v_cndmask_b32_e32 v28, v50, v49, vcc_lo
	v_cndmask_b32_e32 v29, v30, v48, vcc_lo
	v_cmp_ne_u32_e32 vcc_lo, 0, v27
	s_delay_alu instid0(VALU_DEP_2)
	v_dual_cndmask_b32 v28, v32, v28 :: v_dual_cndmask_b32 v27, v31, v29
                                        ; implicit-def: $vgpr29
.LBB43_89:
	s_and_not1_saveexec_b32 s16, s18
	s_cbranch_execz .LBB43_91
; %bb.90:
	v_cvt_f32_u32_e32 v27, s38
	s_sub_i32 s18, 0, s38
	s_delay_alu instid0(VALU_DEP_1) | instskip(SKIP_2) | instid1(VALU_DEP_1)
	v_rcp_iflag_f32_e32 v27, v27
	s_waitcnt_depctr 0xfff
	v_mul_f32_e32 v27, 0x4f7ffffe, v27
	v_cvt_u32_f32_e32 v27, v27
	s_delay_alu instid0(VALU_DEP_1) | instskip(NEXT) | instid1(VALU_DEP_1)
	v_mul_lo_u32 v28, s18, v27
	v_mul_hi_u32 v28, v27, v28
	s_delay_alu instid0(VALU_DEP_1) | instskip(NEXT) | instid1(VALU_DEP_1)
	v_add_nc_u32_e32 v27, v27, v28
	v_mul_hi_u32 v27, v29, v27
	s_delay_alu instid0(VALU_DEP_1) | instskip(NEXT) | instid1(VALU_DEP_1)
	v_mul_lo_u32 v28, v27, s38
	v_sub_nc_u32_e32 v28, v29, v28
	v_add_nc_u32_e32 v29, 1, v27
	s_delay_alu instid0(VALU_DEP_2) | instskip(SKIP_1) | instid1(VALU_DEP_2)
	v_subrev_nc_u32_e32 v30, s38, v28
	v_cmp_le_u32_e32 vcc_lo, s38, v28
	v_dual_cndmask_b32 v28, v28, v30 :: v_dual_cndmask_b32 v27, v27, v29
	s_delay_alu instid0(VALU_DEP_1) | instskip(NEXT) | instid1(VALU_DEP_2)
	v_cmp_le_u32_e32 vcc_lo, s38, v28
	v_dual_mov_b32 v28, 0 :: v_dual_add_nc_u32 v29, 1, v27
	s_delay_alu instid0(VALU_DEP_1)
	v_cndmask_b32_e32 v27, v27, v29, vcc_lo
.LBB43_91:
	s_or_b32 exec_lo, exec_lo, s16
.LBB43_92:
	s_delay_alu instid0(SALU_CYCLE_1) | instskip(SKIP_2) | instid1(VALU_DEP_2)
	s_or_b32 exec_lo, exec_lo, s17
	v_or_b32_e32 v48, 0xe00, v0
	v_dual_mov_b32 v29, v33 :: v_dual_mov_b32 v30, v34
	v_cmp_gt_u32_e64 s16, s52, v48
	s_delay_alu instid0(VALU_DEP_1)
	s_and_saveexec_b32 s18, s16
	s_cbranch_execz .LBB43_98
; %bb.93:
	v_add_co_u32 v31, s17, s40, v48
	s_delay_alu instid0(VALU_DEP_1) | instskip(SKIP_1) | instid1(VALU_DEP_2)
	v_add_co_ci_u32_e64 v32, null, s41, 0, s17
	v_mov_b32_e32 v29, 0
	v_or_b32_e32 v30, s39, v32
	s_delay_alu instid0(VALU_DEP_1) | instskip(SKIP_1) | instid1(SALU_CYCLE_1)
	v_cmp_ne_u64_e32 vcc_lo, 0, v[29:30]
                                        ; implicit-def: $vgpr29_vgpr30
	s_and_saveexec_b32 s17, vcc_lo
	s_xor_b32 s19, exec_lo, s17
	s_cbranch_execz .LBB43_95
; %bb.94:
	v_cvt_f32_u32_e32 v29, s38
	v_cvt_f32_u32_e32 v30, s39
	s_sub_u32 s17, 0, s38
	s_subb_u32 s46, 0, s39
	s_delay_alu instid0(VALU_DEP_1) | instskip(NEXT) | instid1(VALU_DEP_1)
	v_fmamk_f32 v29, v30, 0x4f800000, v29
	v_rcp_f32_e32 v29, v29
	s_waitcnt_depctr 0xfff
	v_mul_f32_e32 v29, 0x5f7ffffc, v29
	s_delay_alu instid0(VALU_DEP_1) | instskip(NEXT) | instid1(VALU_DEP_1)
	v_mul_f32_e32 v30, 0x2f800000, v29
	v_trunc_f32_e32 v30, v30
	s_delay_alu instid0(VALU_DEP_1) | instskip(SKIP_1) | instid1(VALU_DEP_2)
	v_fmamk_f32 v29, v30, 0xcf800000, v29
	v_cvt_u32_f32_e32 v30, v30
	v_cvt_u32_f32_e32 v29, v29
	s_delay_alu instid0(VALU_DEP_2) | instskip(NEXT) | instid1(VALU_DEP_2)
	v_mul_lo_u32 v49, s17, v30
	v_mul_hi_u32 v50, s17, v29
	v_mul_lo_u32 v51, s46, v29
	s_delay_alu instid0(VALU_DEP_2) | instskip(SKIP_1) | instid1(VALU_DEP_2)
	v_add_nc_u32_e32 v49, v50, v49
	v_mul_lo_u32 v50, s17, v29
	v_add_nc_u32_e32 v49, v49, v51
	s_delay_alu instid0(VALU_DEP_2) | instskip(NEXT) | instid1(VALU_DEP_2)
	v_mul_hi_u32 v51, v29, v50
	v_mul_lo_u32 v52, v29, v49
	v_mul_hi_u32 v53, v29, v49
	v_mul_hi_u32 v54, v30, v50
	v_mul_lo_u32 v50, v30, v50
	v_mul_hi_u32 v55, v30, v49
	v_mul_lo_u32 v49, v30, v49
	v_add_co_u32 v51, vcc_lo, v51, v52
	v_add_co_ci_u32_e32 v52, vcc_lo, 0, v53, vcc_lo
	s_delay_alu instid0(VALU_DEP_2) | instskip(NEXT) | instid1(VALU_DEP_2)
	v_add_co_u32 v50, vcc_lo, v51, v50
	v_add_co_ci_u32_e32 v50, vcc_lo, v52, v54, vcc_lo
	v_add_co_ci_u32_e32 v51, vcc_lo, 0, v55, vcc_lo
	s_delay_alu instid0(VALU_DEP_2) | instskip(NEXT) | instid1(VALU_DEP_2)
	v_add_co_u32 v49, vcc_lo, v50, v49
	v_add_co_ci_u32_e32 v50, vcc_lo, 0, v51, vcc_lo
	s_delay_alu instid0(VALU_DEP_2) | instskip(NEXT) | instid1(VALU_DEP_2)
	v_add_co_u32 v29, vcc_lo, v29, v49
	v_add_co_ci_u32_e32 v30, vcc_lo, v30, v50, vcc_lo
	s_delay_alu instid0(VALU_DEP_2) | instskip(SKIP_1) | instid1(VALU_DEP_3)
	v_mul_hi_u32 v49, s17, v29
	v_mul_lo_u32 v51, s46, v29
	v_mul_lo_u32 v50, s17, v30
	s_delay_alu instid0(VALU_DEP_1) | instskip(SKIP_1) | instid1(VALU_DEP_2)
	v_add_nc_u32_e32 v49, v49, v50
	v_mul_lo_u32 v50, s17, v29
	v_add_nc_u32_e32 v49, v49, v51
	s_delay_alu instid0(VALU_DEP_2) | instskip(NEXT) | instid1(VALU_DEP_2)
	v_mul_hi_u32 v51, v29, v50
	v_mul_lo_u32 v52, v29, v49
	v_mul_hi_u32 v53, v29, v49
	v_mul_hi_u32 v54, v30, v50
	v_mul_lo_u32 v50, v30, v50
	v_mul_hi_u32 v55, v30, v49
	v_mul_lo_u32 v49, v30, v49
	v_add_co_u32 v51, vcc_lo, v51, v52
	v_add_co_ci_u32_e32 v52, vcc_lo, 0, v53, vcc_lo
	s_delay_alu instid0(VALU_DEP_2) | instskip(NEXT) | instid1(VALU_DEP_2)
	v_add_co_u32 v50, vcc_lo, v51, v50
	v_add_co_ci_u32_e32 v50, vcc_lo, v52, v54, vcc_lo
	v_add_co_ci_u32_e32 v51, vcc_lo, 0, v55, vcc_lo
	s_delay_alu instid0(VALU_DEP_2) | instskip(NEXT) | instid1(VALU_DEP_2)
	v_add_co_u32 v49, vcc_lo, v50, v49
	v_add_co_ci_u32_e32 v50, vcc_lo, 0, v51, vcc_lo
	s_delay_alu instid0(VALU_DEP_2) | instskip(NEXT) | instid1(VALU_DEP_2)
	v_add_co_u32 v51, vcc_lo, v29, v49
	v_add_co_ci_u32_e32 v53, vcc_lo, v30, v50, vcc_lo
	s_delay_alu instid0(VALU_DEP_2) | instskip(SKIP_1) | instid1(VALU_DEP_3)
	v_mul_hi_u32 v54, v31, v51
	v_mad_u64_u32 v[49:50], null, v32, v51, 0
	v_mad_u64_u32 v[29:30], null, v31, v53, 0
	;; [unrolled: 1-line block ×3, first 2 shown]
	s_delay_alu instid0(VALU_DEP_2) | instskip(NEXT) | instid1(VALU_DEP_3)
	v_add_co_u32 v29, vcc_lo, v54, v29
	v_add_co_ci_u32_e32 v30, vcc_lo, 0, v30, vcc_lo
	s_delay_alu instid0(VALU_DEP_2) | instskip(NEXT) | instid1(VALU_DEP_2)
	v_add_co_u32 v29, vcc_lo, v29, v49
	v_add_co_ci_u32_e32 v29, vcc_lo, v30, v50, vcc_lo
	v_add_co_ci_u32_e32 v30, vcc_lo, 0, v52, vcc_lo
	s_delay_alu instid0(VALU_DEP_2) | instskip(NEXT) | instid1(VALU_DEP_2)
	v_add_co_u32 v49, vcc_lo, v29, v51
	v_add_co_ci_u32_e32 v50, vcc_lo, 0, v30, vcc_lo
	s_delay_alu instid0(VALU_DEP_2) | instskip(SKIP_1) | instid1(VALU_DEP_3)
	v_mul_lo_u32 v51, s39, v49
	v_mad_u64_u32 v[29:30], null, s38, v49, 0
	v_mul_lo_u32 v52, s38, v50
	s_delay_alu instid0(VALU_DEP_2) | instskip(NEXT) | instid1(VALU_DEP_2)
	v_sub_co_u32 v29, vcc_lo, v31, v29
	v_add3_u32 v30, v30, v52, v51
	s_delay_alu instid0(VALU_DEP_1) | instskip(NEXT) | instid1(VALU_DEP_1)
	v_sub_nc_u32_e32 v51, v32, v30
	v_subrev_co_ci_u32_e64 v31, s17, s39, v51, vcc_lo
	v_add_co_u32 v51, s17, v49, 2
	s_delay_alu instid0(VALU_DEP_1) | instskip(SKIP_3) | instid1(VALU_DEP_3)
	v_add_co_ci_u32_e64 v52, s17, 0, v50, s17
	v_sub_co_u32 v53, s17, v29, s38
	v_sub_co_ci_u32_e32 v30, vcc_lo, v32, v30, vcc_lo
	v_subrev_co_ci_u32_e64 v31, s17, 0, v31, s17
	v_cmp_le_u32_e32 vcc_lo, s38, v53
	s_delay_alu instid0(VALU_DEP_3) | instskip(SKIP_1) | instid1(VALU_DEP_4)
	v_cmp_eq_u32_e64 s17, s39, v30
	v_cndmask_b32_e64 v32, 0, -1, vcc_lo
	v_cmp_le_u32_e32 vcc_lo, s39, v31
	v_cndmask_b32_e64 v53, 0, -1, vcc_lo
	v_cmp_le_u32_e32 vcc_lo, s38, v29
	;; [unrolled: 2-line block ×3, first 2 shown]
	v_cndmask_b32_e64 v54, 0, -1, vcc_lo
	v_cmp_eq_u32_e32 vcc_lo, s39, v31
	s_delay_alu instid0(VALU_DEP_2) | instskip(SKIP_3) | instid1(VALU_DEP_3)
	v_cndmask_b32_e64 v29, v54, v29, s17
	v_cndmask_b32_e32 v31, v53, v32, vcc_lo
	v_add_co_u32 v32, vcc_lo, v49, 1
	v_add_co_ci_u32_e32 v53, vcc_lo, 0, v50, vcc_lo
	v_cmp_ne_u32_e32 vcc_lo, 0, v31
	s_delay_alu instid0(VALU_DEP_2) | instskip(SKIP_1) | instid1(VALU_DEP_2)
	v_dual_cndmask_b32 v30, v53, v52 :: v_dual_cndmask_b32 v31, v32, v51
	v_cmp_ne_u32_e32 vcc_lo, 0, v29
	v_dual_cndmask_b32 v30, v50, v30 :: v_dual_cndmask_b32 v29, v49, v31
                                        ; implicit-def: $vgpr31
.LBB43_95:
	s_and_not1_saveexec_b32 s17, s19
	s_cbranch_execz .LBB43_97
; %bb.96:
	v_cvt_f32_u32_e32 v29, s38
	s_sub_i32 s19, 0, s38
	s_delay_alu instid0(VALU_DEP_1) | instskip(SKIP_2) | instid1(VALU_DEP_1)
	v_rcp_iflag_f32_e32 v29, v29
	s_waitcnt_depctr 0xfff
	v_mul_f32_e32 v29, 0x4f7ffffe, v29
	v_cvt_u32_f32_e32 v29, v29
	s_delay_alu instid0(VALU_DEP_1) | instskip(NEXT) | instid1(VALU_DEP_1)
	v_mul_lo_u32 v30, s19, v29
	v_mul_hi_u32 v30, v29, v30
	s_delay_alu instid0(VALU_DEP_1) | instskip(NEXT) | instid1(VALU_DEP_1)
	v_add_nc_u32_e32 v29, v29, v30
	v_mul_hi_u32 v29, v31, v29
	s_delay_alu instid0(VALU_DEP_1) | instskip(NEXT) | instid1(VALU_DEP_1)
	v_mul_lo_u32 v30, v29, s38
	v_sub_nc_u32_e32 v30, v31, v30
	v_add_nc_u32_e32 v31, 1, v29
	s_delay_alu instid0(VALU_DEP_2) | instskip(SKIP_1) | instid1(VALU_DEP_2)
	v_subrev_nc_u32_e32 v32, s38, v30
	v_cmp_le_u32_e32 vcc_lo, s38, v30
	v_dual_cndmask_b32 v30, v30, v32 :: v_dual_cndmask_b32 v29, v29, v31
	s_delay_alu instid0(VALU_DEP_1) | instskip(NEXT) | instid1(VALU_DEP_2)
	v_cmp_le_u32_e32 vcc_lo, s38, v30
	v_dual_mov_b32 v30, 0 :: v_dual_add_nc_u32 v31, 1, v29
	s_delay_alu instid0(VALU_DEP_1)
	v_cndmask_b32_e32 v29, v29, v31, vcc_lo
.LBB43_97:
	s_or_b32 exec_lo, exec_lo, s17
.LBB43_98:
	s_delay_alu instid0(SALU_CYCLE_1) | instskip(SKIP_2) | instid1(VALU_DEP_2)
	s_or_b32 exec_lo, exec_lo, s18
	v_or_b32_e32 v49, 0xf00, v0
	v_dual_mov_b32 v31, v33 :: v_dual_mov_b32 v32, v34
	v_cmp_gt_u32_e64 s17, s52, v49
	s_delay_alu instid0(VALU_DEP_1)
	s_and_saveexec_b32 s19, s17
	s_cbranch_execz .LBB43_104
; %bb.99:
	v_add_co_u32 v50, s18, s40, v49
	s_delay_alu instid0(VALU_DEP_1) | instskip(SKIP_1) | instid1(VALU_DEP_2)
	v_add_co_ci_u32_e64 v51, null, s41, 0, s18
	v_mov_b32_e32 v31, 0
	v_or_b32_e32 v32, s39, v51
	s_delay_alu instid0(VALU_DEP_1) | instskip(SKIP_1) | instid1(SALU_CYCLE_1)
	v_cmp_ne_u64_e32 vcc_lo, 0, v[31:32]
                                        ; implicit-def: $vgpr31_vgpr32
	s_and_saveexec_b32 s18, vcc_lo
	s_xor_b32 s46, exec_lo, s18
	s_cbranch_execz .LBB43_101
; %bb.100:
	v_cvt_f32_u32_e32 v31, s38
	v_cvt_f32_u32_e32 v32, s39
	s_sub_u32 s18, 0, s38
	s_subb_u32 s47, 0, s39
	s_delay_alu instid0(VALU_DEP_1) | instskip(NEXT) | instid1(VALU_DEP_1)
	v_fmamk_f32 v31, v32, 0x4f800000, v31
	v_rcp_f32_e32 v31, v31
	s_waitcnt_depctr 0xfff
	v_mul_f32_e32 v31, 0x5f7ffffc, v31
	s_delay_alu instid0(VALU_DEP_1) | instskip(NEXT) | instid1(VALU_DEP_1)
	v_mul_f32_e32 v32, 0x2f800000, v31
	v_trunc_f32_e32 v32, v32
	s_delay_alu instid0(VALU_DEP_1) | instskip(SKIP_1) | instid1(VALU_DEP_2)
	v_fmamk_f32 v31, v32, 0xcf800000, v31
	v_cvt_u32_f32_e32 v32, v32
	v_cvt_u32_f32_e32 v31, v31
	s_delay_alu instid0(VALU_DEP_2) | instskip(NEXT) | instid1(VALU_DEP_2)
	v_mul_lo_u32 v52, s18, v32
	v_mul_hi_u32 v53, s18, v31
	v_mul_lo_u32 v54, s47, v31
	s_delay_alu instid0(VALU_DEP_2) | instskip(SKIP_1) | instid1(VALU_DEP_2)
	v_add_nc_u32_e32 v52, v53, v52
	v_mul_lo_u32 v53, s18, v31
	v_add_nc_u32_e32 v52, v52, v54
	s_delay_alu instid0(VALU_DEP_2) | instskip(NEXT) | instid1(VALU_DEP_2)
	v_mul_hi_u32 v54, v31, v53
	v_mul_lo_u32 v55, v31, v52
	v_mul_hi_u32 v56, v31, v52
	v_mul_hi_u32 v57, v32, v53
	v_mul_lo_u32 v53, v32, v53
	v_mul_hi_u32 v58, v32, v52
	v_mul_lo_u32 v52, v32, v52
	v_add_co_u32 v54, vcc_lo, v54, v55
	v_add_co_ci_u32_e32 v55, vcc_lo, 0, v56, vcc_lo
	s_delay_alu instid0(VALU_DEP_2) | instskip(NEXT) | instid1(VALU_DEP_2)
	v_add_co_u32 v53, vcc_lo, v54, v53
	v_add_co_ci_u32_e32 v53, vcc_lo, v55, v57, vcc_lo
	v_add_co_ci_u32_e32 v54, vcc_lo, 0, v58, vcc_lo
	s_delay_alu instid0(VALU_DEP_2) | instskip(NEXT) | instid1(VALU_DEP_2)
	v_add_co_u32 v52, vcc_lo, v53, v52
	v_add_co_ci_u32_e32 v53, vcc_lo, 0, v54, vcc_lo
	s_delay_alu instid0(VALU_DEP_2) | instskip(NEXT) | instid1(VALU_DEP_2)
	v_add_co_u32 v31, vcc_lo, v31, v52
	v_add_co_ci_u32_e32 v32, vcc_lo, v32, v53, vcc_lo
	s_delay_alu instid0(VALU_DEP_2) | instskip(SKIP_1) | instid1(VALU_DEP_3)
	v_mul_hi_u32 v52, s18, v31
	v_mul_lo_u32 v54, s47, v31
	v_mul_lo_u32 v53, s18, v32
	s_delay_alu instid0(VALU_DEP_1) | instskip(SKIP_1) | instid1(VALU_DEP_2)
	v_add_nc_u32_e32 v52, v52, v53
	v_mul_lo_u32 v53, s18, v31
	v_add_nc_u32_e32 v52, v52, v54
	s_delay_alu instid0(VALU_DEP_2) | instskip(NEXT) | instid1(VALU_DEP_2)
	v_mul_hi_u32 v54, v31, v53
	v_mul_lo_u32 v55, v31, v52
	v_mul_hi_u32 v56, v31, v52
	v_mul_hi_u32 v57, v32, v53
	v_mul_lo_u32 v53, v32, v53
	v_mul_hi_u32 v58, v32, v52
	v_mul_lo_u32 v52, v32, v52
	v_add_co_u32 v54, vcc_lo, v54, v55
	v_add_co_ci_u32_e32 v55, vcc_lo, 0, v56, vcc_lo
	s_delay_alu instid0(VALU_DEP_2) | instskip(NEXT) | instid1(VALU_DEP_2)
	v_add_co_u32 v53, vcc_lo, v54, v53
	v_add_co_ci_u32_e32 v53, vcc_lo, v55, v57, vcc_lo
	v_add_co_ci_u32_e32 v54, vcc_lo, 0, v58, vcc_lo
	s_delay_alu instid0(VALU_DEP_2) | instskip(NEXT) | instid1(VALU_DEP_2)
	v_add_co_u32 v52, vcc_lo, v53, v52
	v_add_co_ci_u32_e32 v53, vcc_lo, 0, v54, vcc_lo
	s_delay_alu instid0(VALU_DEP_2) | instskip(NEXT) | instid1(VALU_DEP_2)
	v_add_co_u32 v54, vcc_lo, v31, v52
	v_add_co_ci_u32_e32 v56, vcc_lo, v32, v53, vcc_lo
	s_delay_alu instid0(VALU_DEP_2) | instskip(SKIP_1) | instid1(VALU_DEP_3)
	v_mul_hi_u32 v57, v50, v54
	v_mad_u64_u32 v[52:53], null, v51, v54, 0
	v_mad_u64_u32 v[31:32], null, v50, v56, 0
	;; [unrolled: 1-line block ×3, first 2 shown]
	s_delay_alu instid0(VALU_DEP_2) | instskip(NEXT) | instid1(VALU_DEP_3)
	v_add_co_u32 v31, vcc_lo, v57, v31
	v_add_co_ci_u32_e32 v32, vcc_lo, 0, v32, vcc_lo
	s_delay_alu instid0(VALU_DEP_2) | instskip(NEXT) | instid1(VALU_DEP_2)
	v_add_co_u32 v31, vcc_lo, v31, v52
	v_add_co_ci_u32_e32 v31, vcc_lo, v32, v53, vcc_lo
	v_add_co_ci_u32_e32 v32, vcc_lo, 0, v55, vcc_lo
	s_delay_alu instid0(VALU_DEP_2) | instskip(NEXT) | instid1(VALU_DEP_2)
	v_add_co_u32 v52, vcc_lo, v31, v54
	v_add_co_ci_u32_e32 v53, vcc_lo, 0, v32, vcc_lo
	s_delay_alu instid0(VALU_DEP_2) | instskip(SKIP_1) | instid1(VALU_DEP_3)
	v_mul_lo_u32 v54, s39, v52
	v_mad_u64_u32 v[31:32], null, s38, v52, 0
	v_mul_lo_u32 v55, s38, v53
	s_delay_alu instid0(VALU_DEP_2) | instskip(NEXT) | instid1(VALU_DEP_2)
	v_sub_co_u32 v31, vcc_lo, v50, v31
	v_add3_u32 v32, v32, v55, v54
	s_delay_alu instid0(VALU_DEP_1) | instskip(NEXT) | instid1(VALU_DEP_1)
	v_sub_nc_u32_e32 v54, v51, v32
	v_subrev_co_ci_u32_e64 v50, s18, s39, v54, vcc_lo
	v_add_co_u32 v54, s18, v52, 2
	s_delay_alu instid0(VALU_DEP_1) | instskip(SKIP_3) | instid1(VALU_DEP_3)
	v_add_co_ci_u32_e64 v55, s18, 0, v53, s18
	v_sub_co_u32 v56, s18, v31, s38
	v_sub_co_ci_u32_e32 v32, vcc_lo, v51, v32, vcc_lo
	v_subrev_co_ci_u32_e64 v50, s18, 0, v50, s18
	v_cmp_le_u32_e32 vcc_lo, s38, v56
	s_delay_alu instid0(VALU_DEP_3) | instskip(SKIP_1) | instid1(VALU_DEP_4)
	v_cmp_eq_u32_e64 s18, s39, v32
	v_cndmask_b32_e64 v51, 0, -1, vcc_lo
	v_cmp_le_u32_e32 vcc_lo, s39, v50
	v_cndmask_b32_e64 v56, 0, -1, vcc_lo
	v_cmp_le_u32_e32 vcc_lo, s38, v31
	v_cndmask_b32_e64 v31, 0, -1, vcc_lo
	v_cmp_le_u32_e32 vcc_lo, s39, v32
	v_cndmask_b32_e64 v57, 0, -1, vcc_lo
	v_cmp_eq_u32_e32 vcc_lo, s39, v50
	s_delay_alu instid0(VALU_DEP_2) | instskip(SKIP_3) | instid1(VALU_DEP_3)
	v_cndmask_b32_e64 v31, v57, v31, s18
	v_cndmask_b32_e32 v50, v56, v51, vcc_lo
	v_add_co_u32 v51, vcc_lo, v52, 1
	v_add_co_ci_u32_e32 v56, vcc_lo, 0, v53, vcc_lo
	v_cmp_ne_u32_e32 vcc_lo, 0, v50
	s_delay_alu instid0(VALU_DEP_3) | instskip(NEXT) | instid1(VALU_DEP_3)
	v_cndmask_b32_e32 v50, v51, v54, vcc_lo
	v_cndmask_b32_e32 v32, v56, v55, vcc_lo
	v_cmp_ne_u32_e32 vcc_lo, 0, v31
	s_delay_alu instid0(VALU_DEP_2)
	v_dual_cndmask_b32 v32, v53, v32 :: v_dual_cndmask_b32 v31, v52, v50
                                        ; implicit-def: $vgpr50
.LBB43_101:
	s_and_not1_saveexec_b32 s18, s46
	s_cbranch_execz .LBB43_103
; %bb.102:
	v_cvt_f32_u32_e32 v31, s38
	s_sub_i32 s46, 0, s38
	s_delay_alu instid0(VALU_DEP_1) | instskip(SKIP_2) | instid1(VALU_DEP_1)
	v_rcp_iflag_f32_e32 v31, v31
	s_waitcnt_depctr 0xfff
	v_mul_f32_e32 v31, 0x4f7ffffe, v31
	v_cvt_u32_f32_e32 v31, v31
	s_delay_alu instid0(VALU_DEP_1) | instskip(NEXT) | instid1(VALU_DEP_1)
	v_mul_lo_u32 v32, s46, v31
	v_mul_hi_u32 v32, v31, v32
	s_delay_alu instid0(VALU_DEP_1) | instskip(NEXT) | instid1(VALU_DEP_1)
	v_add_nc_u32_e32 v31, v31, v32
	v_mul_hi_u32 v31, v50, v31
	s_delay_alu instid0(VALU_DEP_1) | instskip(NEXT) | instid1(VALU_DEP_1)
	v_mul_lo_u32 v32, v31, s38
	v_sub_nc_u32_e32 v32, v50, v32
	v_add_nc_u32_e32 v50, 1, v31
	s_delay_alu instid0(VALU_DEP_2) | instskip(SKIP_1) | instid1(VALU_DEP_2)
	v_subrev_nc_u32_e32 v51, s38, v32
	v_cmp_le_u32_e32 vcc_lo, s38, v32
	v_dual_cndmask_b32 v32, v32, v51 :: v_dual_cndmask_b32 v31, v31, v50
	s_delay_alu instid0(VALU_DEP_1) | instskip(NEXT) | instid1(VALU_DEP_2)
	v_cmp_le_u32_e32 vcc_lo, s38, v32
	v_add_nc_u32_e32 v50, 1, v31
	s_delay_alu instid0(VALU_DEP_1)
	v_dual_mov_b32 v32, 0 :: v_dual_cndmask_b32 v31, v31, v50
.LBB43_103:
	s_or_b32 exec_lo, exec_lo, s18
.LBB43_104:
	s_delay_alu instid0(SALU_CYCLE_1)
	s_or_b32 exec_lo, exec_lo, s19
	v_lshrrev_b32_e32 v50, 5, v0
	v_lshrrev_b32_e32 v35, 5, v35
	;; [unrolled: 1-line block ×5, first 2 shown]
	v_add_nc_u32_e32 v37, v50, v0
	v_add_nc_u32_e32 v35, v35, v0
	v_lshrrev_b32_e32 v50, 5, v36
	v_lshrrev_b32_e32 v55, 5, v40
	v_add_nc_u32_e32 v53, v51, v0
	v_lshlrev_b32_e32 v56, 3, v37
	v_add_nc_u32_e32 v52, v39, v0
	v_lshlrev_b32_e32 v57, 3, v35
	v_add_nc_u32_e32 v39, v50, v0
	v_add_nc_u32_e32 v51, v54, v0
	ds_store_b64 v56, v[1:2]
	ds_store_b64 v57, v[3:4] offset:2048
	v_lshlrev_b32_e32 v1, 3, v53
	v_lshlrev_b32_e32 v2, 3, v52
	v_add_nc_u32_e32 v50, v55, v0
	v_lshlrev_b32_e32 v3, 3, v39
	v_lshrrev_b32_e32 v4, 5, v43
	ds_store_b64 v1, v[5:6] offset:4096
	v_lshlrev_b32_e32 v1, 3, v51
	ds_store_b64 v2, v[7:8] offset:6144
	ds_store_b64 v3, v[9:10] offset:8192
	v_lshlrev_b32_e32 v2, 3, v50
	v_lshrrev_b32_e32 v3, 5, v41
	v_add_nc_u32_e32 v55, v4, v0
	ds_store_b64 v1, v[11:12] offset:10240
	v_lshrrev_b32_e32 v1, 5, v42
	ds_store_b64 v2, v[13:14] offset:12288
	v_lshrrev_b32_e32 v2, 5, v44
	v_add_nc_u32_e32 v54, v3, v0
	v_lshlrev_b32_e32 v4, 3, v55
	v_add_nc_u32_e32 v56, v1, v0
	v_lshrrev_b32_e32 v1, 5, v45
	v_add_nc_u32_e32 v58, v2, v0
	v_lshlrev_b32_e32 v3, 3, v54
	v_lshlrev_b32_e32 v65, 4, v0
	;; [unrolled: 1-line block ×3, first 2 shown]
	v_add_nc_u32_e32 v57, v1, v0
	v_lshlrev_b32_e32 v1, 3, v58
	ds_store_b64 v3, v[15:16] offset:14336
	ds_store_b64 v2, v[17:18] offset:16384
	ds_store_b64 v4, v[19:20] offset:18432
	v_lshlrev_b32_e32 v2, 3, v57
	ds_store_b64 v1, v[21:22] offset:20480
	v_lshrrev_b32_e32 v1, 5, v47
	v_lshrrev_b32_e32 v3, 5, v46
	;; [unrolled: 1-line block ×3, first 2 shown]
	ds_store_b64 v2, v[23:24] offset:22528
	v_lshrrev_b32_e32 v2, 5, v49
	v_add_nc_u32_e32 v61, v1, v0
	v_lshrrev_b32_e32 v1, 1, v0
	v_add_nc_u32_e32 v59, v3, v0
	v_add_nc_u32_e32 v60, v4, v0
	;; [unrolled: 1-line block ×3, first 2 shown]
	v_lshlrev_b32_e32 v3, 3, v61
	v_add_nc_u32_e32 v67, v1, v65
	v_lshlrev_b32_e32 v2, 3, v59
	v_lshlrev_b32_e32 v4, 3, v60
	;; [unrolled: 1-line block ×3, first 2 shown]
	ds_store_b64 v2, v[25:26] offset:24576
	ds_store_b64 v3, v[27:28] offset:26624
	ds_store_b64 v4, v[29:30] offset:28672
	v_lshlrev_b32_e32 v5, 3, v67
	ds_store_b64 v1, v[31:32] offset:30720
	s_waitcnt lgkmcnt(0)
	s_barrier
	buffer_gl0_inv
	ds_load_2addr_b64 v[29:32], v5 offset1:1
	ds_load_2addr_b64 v[25:28], v5 offset0:2 offset1:3
	ds_load_2addr_b64 v[21:24], v5 offset0:4 offset1:5
	;; [unrolled: 1-line block ×7, first 2 shown]
	s_cmp_eq_u64 s[42:43], 0
	s_cbranch_scc1 .LBB43_113
; %bb.105:
	s_and_not1_b32 vcc_lo, exec_lo, s51
	s_cbranch_vccnz .LBB43_109
; %bb.106:
	s_lshl_b64 s[18:19], s[42:43], 3
	s_delay_alu instid0(SALU_CYCLE_1)
	s_add_u32 s18, s26, s18
	s_addc_u32 s19, s27, s19
	s_add_u32 s18, s18, -8
	s_addc_u32 s19, s19, -1
	s_load_b64 s[18:19], s[18:19], 0x0
	s_waitcnt lgkmcnt(0)
	v_dual_mov_b32 v34, s19 :: v_dual_mov_b32 v33, s18
	s_cbranch_execz .LBB43_110
	s_branch .LBB43_113
.LBB43_107:
                                        ; implicit-def: $sgpr0
                                        ; implicit-def: $vgpr66
                                        ; implicit-def: $vgpr35_vgpr36
                                        ; implicit-def: $vgpr37_vgpr38
                                        ; implicit-def: $vgpr39_vgpr40
                                        ; implicit-def: $vgpr41_vgpr42
                                        ; implicit-def: $vgpr43_vgpr44
                                        ; implicit-def: $vgpr45_vgpr46
                                        ; implicit-def: $vgpr47_vgpr48
                                        ; implicit-def: $vgpr49_vgpr50
                                        ; implicit-def: $vgpr51_vgpr52
                                        ; implicit-def: $vgpr53_vgpr54
                                        ; implicit-def: $vgpr55_vgpr56
                                        ; implicit-def: $vgpr57_vgpr58
                                        ; implicit-def: $vgpr59_vgpr60
                                        ; implicit-def: $vgpr61_vgpr62
                                        ; implicit-def: $vgpr63_vgpr64
                                        ; implicit-def: $sgpr4_sgpr5
	s_cbranch_execnz .LBB43_163
	s_branch .LBB43_257
.LBB43_108:
                                        ; implicit-def: $vgpr33_vgpr34
	s_branch .LBB43_7
.LBB43_109:
                                        ; implicit-def: $sgpr18_sgpr19
	v_dual_mov_b32 v34, s19 :: v_dual_mov_b32 v33, s18
.LBB43_110:
	s_add_u32 s46, s40, -1
	s_addc_u32 s47, s41, -1
	s_delay_alu instid0(SALU_CYCLE_1) | instskip(SKIP_1) | instid1(SALU_CYCLE_1)
	s_or_b64 s[48:49], s[46:47], s[38:39]
	s_mov_b32 s48, 0
	s_cmp_lg_u64 s[48:49], 0
	s_cbranch_scc0 .LBB43_349
; %bb.111:
	v_cvt_f32_u32_e32 v33, s38
	v_cvt_f32_u32_e32 v34, s39
	s_sub_u32 s49, 0, s38
	s_subb_u32 s53, 0, s39
	s_delay_alu instid0(VALU_DEP_1) | instskip(NEXT) | instid1(VALU_DEP_1)
	v_fmamk_f32 v33, v34, 0x4f800000, v33
	v_rcp_f32_e32 v33, v33
	s_waitcnt_depctr 0xfff
	v_mul_f32_e32 v33, 0x5f7ffffc, v33
	s_delay_alu instid0(VALU_DEP_1) | instskip(NEXT) | instid1(VALU_DEP_1)
	v_mul_f32_e32 v34, 0x2f800000, v33
	v_trunc_f32_e32 v34, v34
	s_delay_alu instid0(VALU_DEP_1) | instskip(SKIP_1) | instid1(VALU_DEP_2)
	v_fmamk_f32 v33, v34, 0xcf800000, v33
	v_cvt_u32_f32_e32 v34, v34
	v_cvt_u32_f32_e32 v33, v33
	s_delay_alu instid0(VALU_DEP_2) | instskip(NEXT) | instid1(VALU_DEP_2)
	v_readfirstlane_b32 s18, v34
	v_readfirstlane_b32 s19, v33
	s_delay_alu instid0(VALU_DEP_2) | instskip(NEXT) | instid1(VALU_DEP_1)
	s_mul_i32 s54, s49, s18
	s_mul_hi_u32 s56, s49, s19
	s_mul_i32 s55, s53, s19
	s_add_i32 s54, s56, s54
	s_mul_i32 s57, s49, s19
	s_add_i32 s54, s54, s55
	s_mul_hi_u32 s56, s19, s57
	s_mul_hi_u32 s58, s18, s57
	s_mul_i32 s55, s18, s57
	s_mul_hi_u32 s57, s19, s54
	s_mul_i32 s19, s19, s54
	s_mul_hi_u32 s59, s18, s54
	s_add_u32 s19, s56, s19
	s_addc_u32 s56, 0, s57
	s_add_u32 s19, s19, s55
	s_mul_i32 s54, s18, s54
	s_addc_u32 s19, s56, s58
	s_addc_u32 s55, s59, 0
	s_add_u32 s19, s19, s54
	s_addc_u32 s54, 0, s55
	v_add_co_u32 v33, s19, v33, s19
	s_delay_alu instid0(VALU_DEP_1) | instskip(SKIP_1) | instid1(VALU_DEP_1)
	s_cmp_lg_u32 s19, 0
	s_addc_u32 s18, s18, s54
	v_readfirstlane_b32 s19, v33
	s_mul_i32 s54, s49, s18
	s_delay_alu instid0(VALU_DEP_1)
	s_mul_hi_u32 s55, s49, s19
	s_mul_i32 s53, s53, s19
	s_add_i32 s54, s55, s54
	s_mul_i32 s49, s49, s19
	s_add_i32 s54, s54, s53
	s_mul_hi_u32 s55, s18, s49
	s_mul_i32 s56, s18, s49
	s_mul_hi_u32 s49, s19, s49
	s_mul_hi_u32 s57, s19, s54
	s_mul_i32 s19, s19, s54
	s_mul_hi_u32 s53, s18, s54
	s_add_u32 s19, s49, s19
	s_addc_u32 s49, 0, s57
	s_add_u32 s19, s19, s56
	s_mul_i32 s54, s18, s54
	s_addc_u32 s19, s49, s55
	s_addc_u32 s49, s53, 0
	s_add_u32 s19, s19, s54
	s_addc_u32 s49, 0, s49
	v_add_co_u32 v33, s19, v33, s19
	s_delay_alu instid0(VALU_DEP_1) | instskip(SKIP_1) | instid1(VALU_DEP_1)
	s_cmp_lg_u32 s19, 0
	s_addc_u32 s18, s18, s49
	v_readfirstlane_b32 s19, v33
	s_mul_i32 s53, s46, s18
	s_mul_hi_u32 s49, s46, s18
	s_mul_hi_u32 s54, s47, s18
	s_mul_i32 s18, s47, s18
	s_mul_hi_u32 s55, s46, s19
	s_mul_hi_u32 s56, s47, s19
	s_mul_i32 s19, s47, s19
	s_add_u32 s53, s55, s53
	s_addc_u32 s49, 0, s49
	s_add_u32 s19, s53, s19
	s_addc_u32 s19, s49, s56
	s_addc_u32 s49, s54, 0
	s_add_u32 s19, s19, s18
	s_addc_u32 s49, 0, s49
	s_mul_hi_u32 s18, s38, s19
	s_mul_i32 s54, s38, s49
	s_mul_i32 s55, s38, s19
	s_add_i32 s18, s18, s54
	v_sub_co_u32 v33, s54, s46, s55
	s_mul_i32 s53, s39, s19
	s_delay_alu instid0(SALU_CYCLE_1) | instskip(NEXT) | instid1(VALU_DEP_1)
	s_add_i32 s18, s18, s53
	v_sub_co_u32 v34, s55, v33, s38
	s_sub_i32 s53, s47, s18
	s_cmp_lg_u32 s54, 0
	s_subb_u32 s53, s53, s39
	s_cmp_lg_u32 s55, 0
	v_cmp_le_u32_e32 vcc_lo, s38, v34
	s_subb_u32 s53, s53, 0
	s_delay_alu instid0(SALU_CYCLE_1)
	s_cmp_ge_u32 s53, s39
	v_cndmask_b32_e64 v34, 0, -1, vcc_lo
	s_cselect_b32 s55, -1, 0
	s_cmp_eq_u32 s53, s39
	s_cselect_b32 vcc_lo, -1, 0
	s_add_u32 s53, s19, 1
	v_cndmask_b32_e32 v34, s55, v34, vcc_lo
	s_addc_u32 s55, s49, 0
	s_add_u32 s56, s19, 2
	s_addc_u32 s57, s49, 0
	v_mov_b32_e32 v63, s56
	s_cmp_lg_u32 s54, 0
	v_cmp_le_u32_e32 vcc_lo, s38, v33
	s_subb_u32 s18, s47, s18
	s_delay_alu instid0(SALU_CYCLE_1)
	s_cmp_ge_u32 s18, s39
	v_cndmask_b32_e64 v33, 0, -1, vcc_lo
	s_cselect_b32 s47, -1, 0
	s_cmp_eq_u32 s18, s39
	v_cmp_ne_u32_e32 vcc_lo, 0, v34
	s_cselect_b32 s18, -1, 0
	v_mov_b32_e32 v34, s57
	v_cndmask_b32_e64 v33, s47, v33, s18
	v_cndmask_b32_e32 v63, s53, v63, vcc_lo
	s_delay_alu instid0(VALU_DEP_3) | instskip(NEXT) | instid1(VALU_DEP_3)
	v_cndmask_b32_e32 v34, s55, v34, vcc_lo
	v_cmp_ne_u32_e32 vcc_lo, 0, v33
	s_delay_alu instid0(VALU_DEP_2) | instskip(NEXT) | instid1(VALU_DEP_4)
	v_cndmask_b32_e32 v34, s49, v34, vcc_lo
	v_cndmask_b32_e32 v33, s19, v63, vcc_lo
	s_and_not1_b32 vcc_lo, exec_lo, s48
	s_cbranch_vccnz .LBB43_113
.LBB43_112:
	v_cvt_f32_u32_e32 v33, s38
	s_sub_i32 s19, 0, s38
	s_delay_alu instid0(VALU_DEP_1) | instskip(SKIP_2) | instid1(VALU_DEP_1)
	v_rcp_iflag_f32_e32 v33, v33
	s_waitcnt_depctr 0xfff
	v_mul_f32_e32 v33, 0x4f7ffffe, v33
	v_cvt_u32_f32_e32 v33, v33
	s_delay_alu instid0(VALU_DEP_1) | instskip(NEXT) | instid1(VALU_DEP_1)
	v_readfirstlane_b32 s18, v33
	s_mul_i32 s19, s19, s18
	s_delay_alu instid0(SALU_CYCLE_1) | instskip(NEXT) | instid1(SALU_CYCLE_1)
	s_mul_hi_u32 s19, s18, s19
	s_add_i32 s18, s18, s19
	s_delay_alu instid0(SALU_CYCLE_1) | instskip(NEXT) | instid1(SALU_CYCLE_1)
	s_mul_hi_u32 s18, s46, s18
	s_mul_i32 s19, s18, s38
	s_delay_alu instid0(SALU_CYCLE_1)
	s_sub_i32 s19, s46, s19
	s_add_i32 s46, s18, 1
	s_sub_i32 s47, s19, s38
	s_cmp_ge_u32 s19, s38
	s_cselect_b32 s18, s46, s18
	s_cselect_b32 s19, s47, s19
	s_add_i32 s46, s18, 1
	s_cmp_ge_u32 s19, s38
	s_mov_b32 s19, 0
	s_cselect_b32 s18, s46, s18
	s_delay_alu instid0(SALU_CYCLE_1)
	v_dual_mov_b32 v34, s19 :: v_dual_mov_b32 v33, s18
.LBB43_113:
	v_lshlrev_b32_e32 v63, 3, v0
	s_waitcnt lgkmcnt(0)
	ds_store_b64 v63, v[7:8] offset:33792
	s_waitcnt lgkmcnt(0)
	s_barrier
	buffer_gl0_inv
	s_and_saveexec_b32 s18, s3
	s_cbranch_execz .LBB43_115
; %bb.114:
	ds_load_b64 v[33:34], v63 offset:33784
.LBB43_115:
	s_or_b32 exec_lo, exec_lo, s18
	s_waitcnt lgkmcnt(0)
	s_barrier
	buffer_gl0_inv
                                        ; implicit-def: $vgpr63
	s_and_saveexec_b32 s18, s0
	s_cbranch_execnz .LBB43_230
; %bb.116:
	s_or_b32 exec_lo, exec_lo, s18
                                        ; implicit-def: $vgpr64
	s_and_saveexec_b32 s0, s1
	s_cbranch_execnz .LBB43_231
.LBB43_117:
	s_or_b32 exec_lo, exec_lo, s0
                                        ; implicit-def: $vgpr66
	s_and_saveexec_b32 s0, s4
	s_cbranch_execnz .LBB43_232
.LBB43_118:
	s_or_b32 exec_lo, exec_lo, s0
                                        ; implicit-def: $vgpr68
	s_and_saveexec_b32 s0, s5
	s_cbranch_execnz .LBB43_233
.LBB43_119:
	s_or_b32 exec_lo, exec_lo, s0
                                        ; implicit-def: $vgpr69
	s_and_saveexec_b32 s0, s6
	s_cbranch_execnz .LBB43_234
.LBB43_120:
	s_or_b32 exec_lo, exec_lo, s0
                                        ; implicit-def: $vgpr36
	s_and_saveexec_b32 s0, s7
	s_cbranch_execnz .LBB43_235
.LBB43_121:
	s_or_b32 exec_lo, exec_lo, s0
                                        ; implicit-def: $vgpr38
	s_and_saveexec_b32 s0, s8
	s_cbranch_execnz .LBB43_236
.LBB43_122:
	s_or_b32 exec_lo, exec_lo, s0
                                        ; implicit-def: $vgpr40
	s_and_saveexec_b32 s0, s9
	s_cbranch_execnz .LBB43_237
.LBB43_123:
	s_or_b32 exec_lo, exec_lo, s0
                                        ; implicit-def: $vgpr41
	s_and_saveexec_b32 s0, s10
	s_cbranch_execnz .LBB43_238
.LBB43_124:
	s_or_b32 exec_lo, exec_lo, s0
                                        ; implicit-def: $vgpr42
	s_and_saveexec_b32 s0, s11
	s_cbranch_execnz .LBB43_239
.LBB43_125:
	s_or_b32 exec_lo, exec_lo, s0
                                        ; implicit-def: $vgpr43
	s_and_saveexec_b32 s0, s12
	s_cbranch_execnz .LBB43_240
.LBB43_126:
	s_or_b32 exec_lo, exec_lo, s0
                                        ; implicit-def: $vgpr44
	s_and_saveexec_b32 s0, s13
	s_cbranch_execnz .LBB43_241
.LBB43_127:
	s_or_b32 exec_lo, exec_lo, s0
                                        ; implicit-def: $vgpr45
	s_and_saveexec_b32 s0, s14
	s_cbranch_execnz .LBB43_242
.LBB43_128:
	s_or_b32 exec_lo, exec_lo, s0
                                        ; implicit-def: $vgpr46
	s_and_saveexec_b32 s0, s15
	s_cbranch_execnz .LBB43_243
.LBB43_129:
	s_or_b32 exec_lo, exec_lo, s0
                                        ; implicit-def: $vgpr47
	s_and_saveexec_b32 s0, s16
	s_cbranch_execnz .LBB43_244
.LBB43_130:
	s_or_b32 exec_lo, exec_lo, s0
                                        ; implicit-def: $vgpr48
	s_and_saveexec_b32 s0, s17
	s_cbranch_execz .LBB43_132
.LBB43_131:
	v_lshlrev_b32_e32 v48, 2, v49
	s_delay_alu instid0(VALU_DEP_1) | instskip(NEXT) | instid1(VALU_DEP_1)
	v_add_co_u32 v48, s1, s33, v48
	v_add_co_ci_u32_e64 v49, null, s50, 0, s1
	flat_load_b32 v48, v[48:49]
.LBB43_132:
	s_or_b32 exec_lo, exec_lo, s0
	v_lshlrev_b32_e32 v37, 2, v37
	v_lshlrev_b32_e32 v35, 2, v35
	;; [unrolled: 1-line block ×4, first 2 shown]
	v_cmp_gt_u32_e32 vcc_lo, s52, v65
	s_waitcnt vmcnt(0) lgkmcnt(0)
	ds_store_b32 v37, v63
	ds_store_b32 v35, v64 offset:1024
	v_lshlrev_b32_e32 v35, 2, v39
	v_lshlrev_b32_e32 v37, 2, v51
	;; [unrolled: 1-line block ×3, first 2 shown]
	ds_store_b32 v49, v66 offset:2048
	ds_store_b32 v52, v68 offset:3072
	;; [unrolled: 1-line block ×4, first 2 shown]
	v_lshlrev_b32_e32 v35, 2, v54
	v_lshlrev_b32_e32 v36, 2, v56
	;; [unrolled: 1-line block ×3, first 2 shown]
	ds_store_b32 v39, v38 offset:6144
	v_lshlrev_b32_e32 v38, 2, v58
	ds_store_b32 v35, v40 offset:7168
	ds_store_b32 v36, v41 offset:8192
	v_lshlrev_b32_e32 v35, 2, v57
	v_lshlrev_b32_e32 v36, 2, v59
	ds_store_b32 v37, v42 offset:9216
	ds_store_b32 v38, v43 offset:10240
	v_lshlrev_b32_e32 v37, 2, v61
	s_mov_b32 s6, 0
	ds_store_b32 v35, v44 offset:11264
	ds_store_b32 v36, v45 offset:12288
	ds_store_b32 v37, v46 offset:13312
	v_mov_b32_e32 v35, 0
	v_mov_b32_e32 v36, 0
	v_lshlrev_b32_e32 v38, 2, v60
	v_lshlrev_b32_e32 v39, 2, v62
	ds_store_b32 v38, v47 offset:14336
	ds_store_b32 v39, v48 offset:15360
	v_mov_b32_e32 v48, v36
	v_mov_b32_e32 v42, v36
	;; [unrolled: 1-line block ×3, first 2 shown]
	v_dual_mov_b32 v46, v36 :: v_dual_mov_b32 v41, v35
	v_dual_mov_b32 v50, v36 :: v_dual_mov_b32 v43, v35
	;; [unrolled: 1-line block ×4, first 2 shown]
	v_mov_b32_e32 v56, v36
	v_mov_b32_e32 v38, v36
	v_dual_mov_b32 v40, v36 :: v_dual_mov_b32 v49, v35
	v_dual_mov_b32 v58, v36 :: v_dual_mov_b32 v51, v35
	;; [unrolled: 1-line block ×5, first 2 shown]
	v_mov_b32_e32 v39, v35
	v_mov_b32_e32 v57, v35
	;; [unrolled: 1-line block ×5, first 2 shown]
	s_mov_b64 s[4:5], 0
	s_mov_b32 s1, 0
	s_waitcnt lgkmcnt(0)
	s_barrier
	buffer_gl0_inv
                                        ; implicit-def: $sgpr0
                                        ; implicit-def: $vgpr66
	s_and_saveexec_b32 s7, vcc_lo
	s_cbranch_execz .LBB43_162
; %bb.133:
	v_lshlrev_b32_e32 v67, 2, v67
	v_mov_b32_e32 v37, 0
	v_mov_b32_e32 v38, 0
	v_cmp_ne_u64_e32 vcc_lo, v[33:34], v[29:30]
	v_or_b32_e32 v39, 1, v65
	ds_load_b32 v35, v67
                                        ; implicit-def: $sgpr0
                                        ; implicit-def: $vgpr66
	v_dual_mov_b32 v42, v38 :: v_dual_mov_b32 v41, v37
	v_cndmask_b32_e64 v36, 0, 1, vcc_lo
	v_cmp_gt_u32_e32 vcc_lo, s52, v39
	v_dual_mov_b32 v40, v38 :: v_dual_mov_b32 v39, v37
	v_dual_mov_b32 v44, v38 :: v_dual_mov_b32 v43, v37
	;; [unrolled: 1-line block ×12, first 2 shown]
	s_and_saveexec_b32 s8, vcc_lo
	s_cbranch_execz .LBB43_161
; %bb.134:
	ds_load_2addr_b32 v[33:34], v67 offset0:1 offset1:2
	v_mov_b32_e32 v39, 0
	v_cmp_ne_u64_e32 vcc_lo, v[29:30], v[31:32]
	v_or_b32_e32 v37, 2, v65
	v_mov_b32_e32 v40, 0
                                        ; implicit-def: $sgpr0
                                        ; implicit-def: $vgpr66
	v_cndmask_b32_e64 v38, 0, 1, vcc_lo
	s_delay_alu instid0(VALU_DEP_3) | instskip(SKIP_1) | instid1(VALU_DEP_3)
	v_cmp_gt_u32_e32 vcc_lo, s52, v37
	s_waitcnt lgkmcnt(0)
	v_dual_mov_b32 v37, v33 :: v_dual_mov_b32 v42, v40
	v_dual_mov_b32 v41, v39 :: v_dual_mov_b32 v44, v40
	;; [unrolled: 1-line block ×12, first 2 shown]
	v_mov_b32_e32 v63, v39
	s_and_saveexec_b32 s9, vcc_lo
	s_cbranch_execz .LBB43_160
; %bb.135:
	v_mov_b32_e32 v41, 0
	v_cmp_ne_u64_e32 vcc_lo, v[31:32], v[25:26]
	v_dual_mov_b32 v42, 0 :: v_dual_mov_b32 v39, v34
	v_or_b32_e32 v29, 3, v65
	s_mov_b32 s10, exec_lo
                                        ; implicit-def: $sgpr0
                                        ; implicit-def: $vgpr66
	v_cndmask_b32_e64 v40, 0, 1, vcc_lo
	s_delay_alu instid0(VALU_DEP_3)
	v_dual_mov_b32 v44, v42 :: v_dual_mov_b32 v43, v41
	v_dual_mov_b32 v46, v42 :: v_dual_mov_b32 v45, v41
	v_dual_mov_b32 v48, v42 :: v_dual_mov_b32 v47, v41
	v_dual_mov_b32 v50, v42 :: v_dual_mov_b32 v49, v41
	v_dual_mov_b32 v52, v42 :: v_dual_mov_b32 v51, v41
	v_dual_mov_b32 v54, v42 :: v_dual_mov_b32 v53, v41
	v_dual_mov_b32 v56, v42 :: v_dual_mov_b32 v55, v41
	v_dual_mov_b32 v58, v42 :: v_dual_mov_b32 v57, v41
	v_dual_mov_b32 v60, v42 :: v_dual_mov_b32 v59, v41
	v_dual_mov_b32 v62, v42 :: v_dual_mov_b32 v61, v41
	v_dual_mov_b32 v64, v42 :: v_dual_mov_b32 v63, v41
	v_cmpx_gt_u32_e64 s52, v29
	s_cbranch_execz .LBB43_159
; %bb.136:
	ds_load_2addr_b32 v[29:30], v67 offset0:3 offset1:4
	v_mov_b32_e32 v43, 0
	v_cmp_ne_u64_e32 vcc_lo, v[25:26], v[27:28]
	v_mov_b32_e32 v44, 0
	v_or_b32_e32 v31, 4, v65
	s_mov_b32 s11, exec_lo
                                        ; implicit-def: $sgpr0
                                        ; implicit-def: $vgpr66
	v_cndmask_b32_e64 v42, 0, 1, vcc_lo
	s_waitcnt lgkmcnt(0)
	v_dual_mov_b32 v41, v29 :: v_dual_mov_b32 v46, v44
	v_dual_mov_b32 v45, v43 :: v_dual_mov_b32 v48, v44
	;; [unrolled: 1-line block ×10, first 2 shown]
	v_mov_b32_e32 v63, v43
	v_cmpx_gt_u32_e64 s52, v31
	s_cbranch_execz .LBB43_158
; %bb.137:
	v_mov_b32_e32 v45, 0
	v_cmp_ne_u64_e32 vcc_lo, v[27:28], v[21:22]
	v_dual_mov_b32 v46, 0 :: v_dual_mov_b32 v43, v30
	v_or_b32_e32 v25, 5, v65
	s_mov_b32 s12, exec_lo
                                        ; implicit-def: $sgpr0
                                        ; implicit-def: $vgpr66
	v_cndmask_b32_e64 v44, 0, 1, vcc_lo
	s_delay_alu instid0(VALU_DEP_3)
	v_dual_mov_b32 v48, v46 :: v_dual_mov_b32 v47, v45
	v_dual_mov_b32 v50, v46 :: v_dual_mov_b32 v49, v45
	;; [unrolled: 1-line block ×9, first 2 shown]
	v_cmpx_gt_u32_e64 s52, v25
	s_cbranch_execz .LBB43_157
; %bb.138:
	ds_load_2addr_b32 v[25:26], v67 offset0:5 offset1:6
	v_mov_b32_e32 v47, 0
	v_cmp_ne_u64_e32 vcc_lo, v[21:22], v[23:24]
	v_mov_b32_e32 v48, 0
	v_or_b32_e32 v27, 6, v65
	s_mov_b32 s13, exec_lo
                                        ; implicit-def: $sgpr0
                                        ; implicit-def: $vgpr66
	v_cndmask_b32_e64 v46, 0, 1, vcc_lo
	s_waitcnt lgkmcnt(0)
	v_dual_mov_b32 v45, v25 :: v_dual_mov_b32 v50, v48
	v_dual_mov_b32 v49, v47 :: v_dual_mov_b32 v52, v48
	;; [unrolled: 1-line block ×8, first 2 shown]
	v_mov_b32_e32 v63, v47
	v_cmpx_gt_u32_e64 s52, v27
	s_cbranch_execz .LBB43_156
; %bb.139:
	v_mov_b32_e32 v49, 0
	v_cmp_ne_u64_e32 vcc_lo, v[23:24], v[17:18]
	v_dual_mov_b32 v50, 0 :: v_dual_mov_b32 v47, v26
	v_or_b32_e32 v21, 7, v65
	s_mov_b32 s14, exec_lo
                                        ; implicit-def: $sgpr0
                                        ; implicit-def: $vgpr66
	v_cndmask_b32_e64 v48, 0, 1, vcc_lo
	s_delay_alu instid0(VALU_DEP_3)
	v_dual_mov_b32 v52, v50 :: v_dual_mov_b32 v51, v49
	v_dual_mov_b32 v54, v50 :: v_dual_mov_b32 v53, v49
	;; [unrolled: 1-line block ×7, first 2 shown]
	v_cmpx_gt_u32_e64 s52, v21
	s_cbranch_execz .LBB43_155
; %bb.140:
	ds_load_2addr_b32 v[21:22], v67 offset0:7 offset1:8
	v_mov_b32_e32 v51, 0
	v_cmp_ne_u64_e32 vcc_lo, v[17:18], v[19:20]
	v_mov_b32_e32 v52, 0
	v_or_b32_e32 v23, 8, v65
	s_mov_b32 s15, exec_lo
                                        ; implicit-def: $sgpr0
                                        ; implicit-def: $vgpr66
	v_cndmask_b32_e64 v50, 0, 1, vcc_lo
	s_waitcnt lgkmcnt(0)
	v_dual_mov_b32 v49, v21 :: v_dual_mov_b32 v54, v52
	v_dual_mov_b32 v53, v51 :: v_dual_mov_b32 v56, v52
	;; [unrolled: 1-line block ×6, first 2 shown]
	v_mov_b32_e32 v63, v51
	v_cmpx_gt_u32_e64 s52, v23
	s_cbranch_execz .LBB43_154
; %bb.141:
	v_mov_b32_e32 v53, 0
	v_cmp_ne_u64_e32 vcc_lo, v[19:20], v[13:14]
	v_dual_mov_b32 v54, 0 :: v_dual_mov_b32 v51, v22
	v_or_b32_e32 v17, 9, v65
	s_mov_b32 s16, exec_lo
                                        ; implicit-def: $sgpr0
                                        ; implicit-def: $vgpr66
	v_cndmask_b32_e64 v52, 0, 1, vcc_lo
	s_delay_alu instid0(VALU_DEP_3)
	v_dual_mov_b32 v56, v54 :: v_dual_mov_b32 v55, v53
	v_dual_mov_b32 v58, v54 :: v_dual_mov_b32 v57, v53
	;; [unrolled: 1-line block ×5, first 2 shown]
	v_cmpx_gt_u32_e64 s52, v17
	s_cbranch_execz .LBB43_153
; %bb.142:
	ds_load_2addr_b32 v[17:18], v67 offset0:9 offset1:10
	v_mov_b32_e32 v55, 0
	v_cmp_ne_u64_e32 vcc_lo, v[13:14], v[15:16]
	v_mov_b32_e32 v56, 0
	v_or_b32_e32 v19, 10, v65
	s_mov_b32 s17, exec_lo
                                        ; implicit-def: $sgpr0
                                        ; implicit-def: $vgpr66
	v_cndmask_b32_e64 v54, 0, 1, vcc_lo
	s_waitcnt lgkmcnt(0)
	v_dual_mov_b32 v53, v17 :: v_dual_mov_b32 v58, v56
	v_dual_mov_b32 v57, v55 :: v_dual_mov_b32 v60, v56
	;; [unrolled: 1-line block ×4, first 2 shown]
	v_mov_b32_e32 v63, v55
	v_cmpx_gt_u32_e64 s52, v19
	s_cbranch_execz .LBB43_152
; %bb.143:
	v_mov_b32_e32 v57, 0
	v_cmp_ne_u64_e32 vcc_lo, v[15:16], v[9:10]
	v_dual_mov_b32 v58, 0 :: v_dual_mov_b32 v55, v18
	v_or_b32_e32 v13, 11, v65
	s_mov_b32 s18, exec_lo
                                        ; implicit-def: $sgpr0
                                        ; implicit-def: $vgpr66
	v_cndmask_b32_e64 v56, 0, 1, vcc_lo
	s_delay_alu instid0(VALU_DEP_3)
	v_dual_mov_b32 v60, v58 :: v_dual_mov_b32 v59, v57
	v_dual_mov_b32 v62, v58 :: v_dual_mov_b32 v61, v57
	v_dual_mov_b32 v64, v58 :: v_dual_mov_b32 v63, v57
	v_cmpx_gt_u32_e64 s52, v13
	s_cbranch_execz .LBB43_151
; %bb.144:
	ds_load_2addr_b32 v[13:14], v67 offset0:11 offset1:12
	v_mov_b32_e32 v59, 0
	v_cmp_ne_u64_e32 vcc_lo, v[9:10], v[11:12]
	v_mov_b32_e32 v60, 0
	v_or_b32_e32 v15, 12, v65
	s_mov_b32 s19, exec_lo
                                        ; implicit-def: $sgpr0
                                        ; implicit-def: $vgpr66
	v_cndmask_b32_e64 v58, 0, 1, vcc_lo
	s_waitcnt lgkmcnt(0)
	v_dual_mov_b32 v57, v13 :: v_dual_mov_b32 v62, v60
	v_dual_mov_b32 v61, v59 :: v_dual_mov_b32 v64, v60
	v_mov_b32_e32 v63, v59
	v_cmpx_gt_u32_e64 s52, v15
	s_cbranch_execz .LBB43_150
; %bb.145:
	v_mov_b32_e32 v61, 0
	v_cmp_ne_u64_e32 vcc_lo, v[11:12], v[1:2]
	v_dual_mov_b32 v62, 0 :: v_dual_mov_b32 v59, v14
	v_or_b32_e32 v9, 13, v65
	s_mov_b32 s46, exec_lo
                                        ; implicit-def: $sgpr47
                                        ; implicit-def: $vgpr66
	v_cndmask_b32_e64 v60, 0, 1, vcc_lo
	s_delay_alu instid0(VALU_DEP_3) | instskip(NEXT) | instid1(VALU_DEP_3)
	v_dual_mov_b32 v64, v62 :: v_dual_mov_b32 v63, v61
	v_cmpx_gt_u32_e64 s52, v9
	s_cbranch_execz .LBB43_149
; %bb.146:
	ds_load_2addr_b32 v[9:10], v67 offset0:13 offset1:14
	v_cmp_ne_u64_e32 vcc_lo, v[1:2], v[3:4]
	v_mov_b32_e32 v63, 0
	v_or_b32_e32 v11, 14, v65
	v_mov_b32_e32 v64, 0
	s_mov_b32 s0, 0
	s_mov_b32 s47, exec_lo
	v_cndmask_b32_e64 v62, 0, 1, vcc_lo
                                        ; implicit-def: $sgpr1
                                        ; implicit-def: $vgpr66
	s_waitcnt lgkmcnt(0)
	v_mov_b32_e32 v61, v9
	v_cmpx_gt_u32_e64 s52, v11
	s_xor_b32 s47, exec_lo, s47
	s_cbranch_execz .LBB43_148
; %bb.147:
	ds_load_b32 v66, v67 offset:60
	v_or_b32_e32 v1, 15, v65
	v_cmp_ne_u64_e64 s1, v[3:4], v[5:6]
	v_cmp_ne_u64_e32 vcc_lo, v[5:6], v[7:8]
	v_mov_b32_e32 v63, v10
	s_delay_alu instid0(VALU_DEP_4) | instskip(NEXT) | instid1(VALU_DEP_4)
	v_cmp_gt_u32_e64 s0, s52, v1
	v_cndmask_b32_e64 v64, 0, 1, s1
	s_and_b32 s1, vcc_lo, exec_lo
	s_delay_alu instid0(VALU_DEP_2)
	s_and_b32 s0, s0, exec_lo
.LBB43_148:
	s_or_b32 exec_lo, exec_lo, s47
	s_delay_alu instid0(SALU_CYCLE_1)
	s_and_b32 s47, s1, exec_lo
	s_and_b32 s1, s0, exec_lo
.LBB43_149:
	s_or_b32 exec_lo, exec_lo, s46
	s_delay_alu instid0(SALU_CYCLE_1)
	s_and_b32 s0, s47, exec_lo
	s_and_b32 s1, s1, exec_lo
.LBB43_150:
	s_or_b32 exec_lo, exec_lo, s19
	s_delay_alu instid0(SALU_CYCLE_1)
	s_and_b32 s0, s0, exec_lo
	s_and_b32 s1, s1, exec_lo
.LBB43_151:
	s_or_b32 exec_lo, exec_lo, s18
	s_delay_alu instid0(SALU_CYCLE_1)
	s_and_b32 s0, s0, exec_lo
	s_and_b32 s1, s1, exec_lo
.LBB43_152:
	s_or_b32 exec_lo, exec_lo, s17
	s_delay_alu instid0(SALU_CYCLE_1)
	s_and_b32 s0, s0, exec_lo
	s_and_b32 s1, s1, exec_lo
.LBB43_153:
	s_or_b32 exec_lo, exec_lo, s16
	s_delay_alu instid0(SALU_CYCLE_1)
	s_and_b32 s0, s0, exec_lo
	s_and_b32 s1, s1, exec_lo
.LBB43_154:
	s_or_b32 exec_lo, exec_lo, s15
	s_delay_alu instid0(SALU_CYCLE_1)
	s_and_b32 s0, s0, exec_lo
	s_and_b32 s1, s1, exec_lo
.LBB43_155:
	s_or_b32 exec_lo, exec_lo, s14
	s_delay_alu instid0(SALU_CYCLE_1)
	s_and_b32 s0, s0, exec_lo
	s_and_b32 s1, s1, exec_lo
.LBB43_156:
	s_or_b32 exec_lo, exec_lo, s13
	s_delay_alu instid0(SALU_CYCLE_1)
	s_and_b32 s0, s0, exec_lo
	s_and_b32 s1, s1, exec_lo
.LBB43_157:
	s_or_b32 exec_lo, exec_lo, s12
	s_delay_alu instid0(SALU_CYCLE_1)
	s_and_b32 s0, s0, exec_lo
	s_and_b32 s1, s1, exec_lo
.LBB43_158:
	s_or_b32 exec_lo, exec_lo, s11
	s_delay_alu instid0(SALU_CYCLE_1)
	s_and_b32 s0, s0, exec_lo
	s_and_b32 s1, s1, exec_lo
.LBB43_159:
	s_or_b32 exec_lo, exec_lo, s10
	s_delay_alu instid0(SALU_CYCLE_1)
	s_and_b32 s0, s0, exec_lo
	s_and_b32 s1, s1, exec_lo
.LBB43_160:
	s_or_b32 exec_lo, exec_lo, s9
	s_delay_alu instid0(SALU_CYCLE_1)
	s_and_b32 s0, s0, exec_lo
	s_and_b32 s1, s1, exec_lo
.LBB43_161:
	s_or_b32 exec_lo, exec_lo, s8
	s_delay_alu instid0(SALU_CYCLE_1)
	s_and_b32 s0, s0, exec_lo
	s_and_b32 s1, s1, exec_lo
.LBB43_162:
	s_or_b32 exec_lo, exec_lo, s7
	s_delay_alu instid0(SALU_CYCLE_1)
	s_and_b32 vcc_lo, exec_lo, s6
	s_cbranch_vccz .LBB43_257
.LBB43_163:
	v_add_co_u32 v31, s0, s40, v0
	s_delay_alu instid0(VALU_DEP_1) | instskip(SKIP_1) | instid1(VALU_DEP_2)
	v_add_co_ci_u32_e64 v32, null, s41, 0, s0
	v_mov_b32_e32 v1, 0
	v_or_b32_e32 v2, s39, v32
	s_delay_alu instid0(VALU_DEP_1) | instskip(SKIP_1) | instid1(SALU_CYCLE_1)
	v_cmp_ne_u64_e32 vcc_lo, 0, v[1:2]
                                        ; implicit-def: $vgpr1_vgpr2
	s_and_saveexec_b32 s0, vcc_lo
	s_xor_b32 s1, exec_lo, s0
	s_cbranch_execz .LBB43_165
; %bb.164:
	v_cvt_f32_u32_e32 v1, s38
	v_cvt_f32_u32_e32 v2, s39
	s_sub_u32 s0, 0, s38
	s_subb_u32 s4, 0, s39
	s_delay_alu instid0(VALU_DEP_1) | instskip(NEXT) | instid1(VALU_DEP_1)
	v_fmamk_f32 v1, v2, 0x4f800000, v1
	v_rcp_f32_e32 v1, v1
	s_waitcnt_depctr 0xfff
	v_mul_f32_e32 v1, 0x5f7ffffc, v1
	s_delay_alu instid0(VALU_DEP_1) | instskip(NEXT) | instid1(VALU_DEP_1)
	v_mul_f32_e32 v2, 0x2f800000, v1
	v_trunc_f32_e32 v2, v2
	s_delay_alu instid0(VALU_DEP_1) | instskip(SKIP_1) | instid1(VALU_DEP_2)
	v_fmamk_f32 v1, v2, 0xcf800000, v1
	v_cvt_u32_f32_e32 v2, v2
	v_cvt_u32_f32_e32 v1, v1
	s_delay_alu instid0(VALU_DEP_2) | instskip(NEXT) | instid1(VALU_DEP_2)
	v_mul_lo_u32 v3, s0, v2
	v_mul_hi_u32 v4, s0, v1
	v_mul_lo_u32 v5, s4, v1
	s_delay_alu instid0(VALU_DEP_2) | instskip(SKIP_1) | instid1(VALU_DEP_2)
	v_add_nc_u32_e32 v3, v4, v3
	v_mul_lo_u32 v4, s0, v1
	v_add_nc_u32_e32 v3, v3, v5
	s_delay_alu instid0(VALU_DEP_2) | instskip(NEXT) | instid1(VALU_DEP_2)
	v_mul_hi_u32 v5, v1, v4
	v_mul_lo_u32 v6, v1, v3
	v_mul_hi_u32 v7, v1, v3
	v_mul_hi_u32 v8, v2, v4
	v_mul_lo_u32 v4, v2, v4
	v_mul_hi_u32 v9, v2, v3
	v_mul_lo_u32 v3, v2, v3
	v_add_co_u32 v5, vcc_lo, v5, v6
	v_add_co_ci_u32_e32 v6, vcc_lo, 0, v7, vcc_lo
	s_delay_alu instid0(VALU_DEP_2) | instskip(NEXT) | instid1(VALU_DEP_2)
	v_add_co_u32 v4, vcc_lo, v5, v4
	v_add_co_ci_u32_e32 v4, vcc_lo, v6, v8, vcc_lo
	v_add_co_ci_u32_e32 v5, vcc_lo, 0, v9, vcc_lo
	s_delay_alu instid0(VALU_DEP_2) | instskip(NEXT) | instid1(VALU_DEP_2)
	v_add_co_u32 v3, vcc_lo, v4, v3
	v_add_co_ci_u32_e32 v4, vcc_lo, 0, v5, vcc_lo
	s_delay_alu instid0(VALU_DEP_2) | instskip(NEXT) | instid1(VALU_DEP_2)
	v_add_co_u32 v1, vcc_lo, v1, v3
	v_add_co_ci_u32_e32 v2, vcc_lo, v2, v4, vcc_lo
	s_delay_alu instid0(VALU_DEP_2) | instskip(SKIP_1) | instid1(VALU_DEP_3)
	v_mul_hi_u32 v3, s0, v1
	v_mul_lo_u32 v5, s4, v1
	v_mul_lo_u32 v4, s0, v2
	s_delay_alu instid0(VALU_DEP_1) | instskip(SKIP_1) | instid1(VALU_DEP_2)
	v_add_nc_u32_e32 v3, v3, v4
	v_mul_lo_u32 v4, s0, v1
	v_add_nc_u32_e32 v3, v3, v5
	s_delay_alu instid0(VALU_DEP_2) | instskip(NEXT) | instid1(VALU_DEP_2)
	v_mul_hi_u32 v5, v1, v4
	v_mul_lo_u32 v6, v1, v3
	v_mul_hi_u32 v7, v1, v3
	v_mul_hi_u32 v8, v2, v4
	v_mul_lo_u32 v4, v2, v4
	v_mul_hi_u32 v9, v2, v3
	v_mul_lo_u32 v3, v2, v3
	v_add_co_u32 v5, vcc_lo, v5, v6
	v_add_co_ci_u32_e32 v6, vcc_lo, 0, v7, vcc_lo
	s_delay_alu instid0(VALU_DEP_2) | instskip(NEXT) | instid1(VALU_DEP_2)
	v_add_co_u32 v4, vcc_lo, v5, v4
	v_add_co_ci_u32_e32 v4, vcc_lo, v6, v8, vcc_lo
	v_add_co_ci_u32_e32 v5, vcc_lo, 0, v9, vcc_lo
	s_delay_alu instid0(VALU_DEP_2) | instskip(NEXT) | instid1(VALU_DEP_2)
	v_add_co_u32 v3, vcc_lo, v4, v3
	v_add_co_ci_u32_e32 v4, vcc_lo, 0, v5, vcc_lo
	s_delay_alu instid0(VALU_DEP_2) | instskip(NEXT) | instid1(VALU_DEP_2)
	v_add_co_u32 v5, vcc_lo, v1, v3
	v_add_co_ci_u32_e32 v7, vcc_lo, v2, v4, vcc_lo
	s_delay_alu instid0(VALU_DEP_2) | instskip(SKIP_1) | instid1(VALU_DEP_3)
	v_mul_hi_u32 v8, v31, v5
	v_mad_u64_u32 v[3:4], null, v32, v5, 0
	v_mad_u64_u32 v[1:2], null, v31, v7, 0
	;; [unrolled: 1-line block ×3, first 2 shown]
	s_delay_alu instid0(VALU_DEP_2) | instskip(NEXT) | instid1(VALU_DEP_3)
	v_add_co_u32 v1, vcc_lo, v8, v1
	v_add_co_ci_u32_e32 v2, vcc_lo, 0, v2, vcc_lo
	s_delay_alu instid0(VALU_DEP_2) | instskip(NEXT) | instid1(VALU_DEP_2)
	v_add_co_u32 v1, vcc_lo, v1, v3
	v_add_co_ci_u32_e32 v1, vcc_lo, v2, v4, vcc_lo
	v_add_co_ci_u32_e32 v2, vcc_lo, 0, v6, vcc_lo
	s_delay_alu instid0(VALU_DEP_2) | instskip(NEXT) | instid1(VALU_DEP_2)
	v_add_co_u32 v3, vcc_lo, v1, v5
	v_add_co_ci_u32_e32 v4, vcc_lo, 0, v2, vcc_lo
	s_delay_alu instid0(VALU_DEP_2) | instskip(SKIP_1) | instid1(VALU_DEP_3)
	v_mul_lo_u32 v5, s39, v3
	v_mad_u64_u32 v[1:2], null, s38, v3, 0
	v_mul_lo_u32 v6, s38, v4
	s_delay_alu instid0(VALU_DEP_2) | instskip(NEXT) | instid1(VALU_DEP_2)
	v_sub_co_u32 v1, vcc_lo, v31, v1
	v_add3_u32 v2, v2, v6, v5
	s_delay_alu instid0(VALU_DEP_1) | instskip(NEXT) | instid1(VALU_DEP_1)
	v_sub_nc_u32_e32 v5, v32, v2
	v_subrev_co_ci_u32_e64 v5, s0, s39, v5, vcc_lo
	v_add_co_u32 v6, s0, v3, 2
	s_delay_alu instid0(VALU_DEP_1) | instskip(SKIP_3) | instid1(VALU_DEP_3)
	v_add_co_ci_u32_e64 v7, s0, 0, v4, s0
	v_sub_co_u32 v8, s0, v1, s38
	v_sub_co_ci_u32_e32 v2, vcc_lo, v32, v2, vcc_lo
	v_subrev_co_ci_u32_e64 v5, s0, 0, v5, s0
	v_cmp_le_u32_e32 vcc_lo, s38, v8
	s_delay_alu instid0(VALU_DEP_3) | instskip(SKIP_1) | instid1(VALU_DEP_4)
	v_cmp_eq_u32_e64 s0, s39, v2
	v_cndmask_b32_e64 v8, 0, -1, vcc_lo
	v_cmp_le_u32_e32 vcc_lo, s39, v5
	v_cndmask_b32_e64 v9, 0, -1, vcc_lo
	v_cmp_le_u32_e32 vcc_lo, s38, v1
	;; [unrolled: 2-line block ×3, first 2 shown]
	v_cndmask_b32_e64 v10, 0, -1, vcc_lo
	v_cmp_eq_u32_e32 vcc_lo, s39, v5
	s_delay_alu instid0(VALU_DEP_2) | instskip(SKIP_3) | instid1(VALU_DEP_3)
	v_cndmask_b32_e64 v1, v10, v1, s0
	v_cndmask_b32_e32 v5, v9, v8, vcc_lo
	v_add_co_u32 v8, vcc_lo, v3, 1
	v_add_co_ci_u32_e32 v9, vcc_lo, 0, v4, vcc_lo
	v_cmp_ne_u32_e32 vcc_lo, 0, v5
	s_delay_alu instid0(VALU_DEP_2) | instskip(SKIP_1) | instid1(VALU_DEP_2)
	v_dual_cndmask_b32 v2, v9, v7 :: v_dual_cndmask_b32 v5, v8, v6
	v_cmp_ne_u32_e32 vcc_lo, 0, v1
	v_dual_cndmask_b32 v2, v4, v2 :: v_dual_cndmask_b32 v1, v3, v5
.LBB43_165:
	s_and_not1_saveexec_b32 s0, s1
	s_cbranch_execz .LBB43_167
; %bb.166:
	v_cvt_f32_u32_e32 v1, s38
	s_sub_i32 s1, 0, s38
	s_delay_alu instid0(VALU_DEP_1) | instskip(SKIP_2) | instid1(VALU_DEP_1)
	v_rcp_iflag_f32_e32 v1, v1
	s_waitcnt_depctr 0xfff
	v_mul_f32_e32 v1, 0x4f7ffffe, v1
	v_cvt_u32_f32_e32 v1, v1
	s_delay_alu instid0(VALU_DEP_1) | instskip(NEXT) | instid1(VALU_DEP_1)
	v_mul_lo_u32 v2, s1, v1
	v_mul_hi_u32 v2, v1, v2
	s_delay_alu instid0(VALU_DEP_1) | instskip(NEXT) | instid1(VALU_DEP_1)
	v_add_nc_u32_e32 v1, v1, v2
	v_mul_hi_u32 v1, v31, v1
	s_delay_alu instid0(VALU_DEP_1) | instskip(SKIP_1) | instid1(VALU_DEP_2)
	v_mul_lo_u32 v2, v1, s38
	v_add_nc_u32_e32 v3, 1, v1
	v_sub_nc_u32_e32 v2, v31, v2
	s_delay_alu instid0(VALU_DEP_1) | instskip(SKIP_1) | instid1(VALU_DEP_2)
	v_subrev_nc_u32_e32 v4, s38, v2
	v_cmp_le_u32_e32 vcc_lo, s38, v2
	v_dual_cndmask_b32 v2, v2, v4 :: v_dual_cndmask_b32 v1, v1, v3
	s_delay_alu instid0(VALU_DEP_1) | instskip(NEXT) | instid1(VALU_DEP_2)
	v_cmp_le_u32_e32 vcc_lo, s38, v2
	v_dual_mov_b32 v2, 0 :: v_dual_add_nc_u32 v3, 1, v1
	s_delay_alu instid0(VALU_DEP_1)
	v_cndmask_b32_e32 v1, v1, v3, vcc_lo
.LBB43_167:
	s_or_b32 exec_lo, exec_lo, s0
	v_add_co_u32 v5, vcc_lo, 0x100, v31
	v_add_co_ci_u32_e32 v6, vcc_lo, 0, v32, vcc_lo
	v_mov_b32_e32 v3, 0
	s_delay_alu instid0(VALU_DEP_2) | instskip(NEXT) | instid1(VALU_DEP_1)
	v_or_b32_e32 v4, s39, v6
	v_cmp_ne_u64_e32 vcc_lo, 0, v[3:4]
                                        ; implicit-def: $vgpr3_vgpr4
	s_and_saveexec_b32 s0, vcc_lo
	s_delay_alu instid0(SALU_CYCLE_1)
	s_xor_b32 s1, exec_lo, s0
	s_cbranch_execz .LBB43_169
; %bb.168:
	v_cvt_f32_u32_e32 v3, s38
	v_cvt_f32_u32_e32 v4, s39
	s_sub_u32 s0, 0, s38
	s_subb_u32 s4, 0, s39
	s_delay_alu instid0(VALU_DEP_1) | instskip(NEXT) | instid1(VALU_DEP_1)
	v_fmamk_f32 v3, v4, 0x4f800000, v3
	v_rcp_f32_e32 v3, v3
	s_waitcnt_depctr 0xfff
	v_mul_f32_e32 v3, 0x5f7ffffc, v3
	s_delay_alu instid0(VALU_DEP_1) | instskip(NEXT) | instid1(VALU_DEP_1)
	v_mul_f32_e32 v4, 0x2f800000, v3
	v_trunc_f32_e32 v4, v4
	s_delay_alu instid0(VALU_DEP_1) | instskip(SKIP_1) | instid1(VALU_DEP_2)
	v_fmamk_f32 v3, v4, 0xcf800000, v3
	v_cvt_u32_f32_e32 v4, v4
	v_cvt_u32_f32_e32 v3, v3
	s_delay_alu instid0(VALU_DEP_2) | instskip(NEXT) | instid1(VALU_DEP_2)
	v_mul_lo_u32 v7, s0, v4
	v_mul_hi_u32 v8, s0, v3
	v_mul_lo_u32 v9, s4, v3
	s_delay_alu instid0(VALU_DEP_2) | instskip(SKIP_1) | instid1(VALU_DEP_2)
	v_add_nc_u32_e32 v7, v8, v7
	v_mul_lo_u32 v8, s0, v3
	v_add_nc_u32_e32 v7, v7, v9
	s_delay_alu instid0(VALU_DEP_2) | instskip(NEXT) | instid1(VALU_DEP_2)
	v_mul_hi_u32 v9, v3, v8
	v_mul_lo_u32 v10, v3, v7
	v_mul_hi_u32 v11, v3, v7
	v_mul_hi_u32 v12, v4, v8
	v_mul_lo_u32 v8, v4, v8
	v_mul_hi_u32 v13, v4, v7
	v_mul_lo_u32 v7, v4, v7
	v_add_co_u32 v9, vcc_lo, v9, v10
	v_add_co_ci_u32_e32 v10, vcc_lo, 0, v11, vcc_lo
	s_delay_alu instid0(VALU_DEP_2) | instskip(NEXT) | instid1(VALU_DEP_2)
	v_add_co_u32 v8, vcc_lo, v9, v8
	v_add_co_ci_u32_e32 v8, vcc_lo, v10, v12, vcc_lo
	v_add_co_ci_u32_e32 v9, vcc_lo, 0, v13, vcc_lo
	s_delay_alu instid0(VALU_DEP_2) | instskip(NEXT) | instid1(VALU_DEP_2)
	v_add_co_u32 v7, vcc_lo, v8, v7
	v_add_co_ci_u32_e32 v8, vcc_lo, 0, v9, vcc_lo
	s_delay_alu instid0(VALU_DEP_2) | instskip(NEXT) | instid1(VALU_DEP_2)
	v_add_co_u32 v3, vcc_lo, v3, v7
	v_add_co_ci_u32_e32 v4, vcc_lo, v4, v8, vcc_lo
	s_delay_alu instid0(VALU_DEP_2) | instskip(SKIP_1) | instid1(VALU_DEP_3)
	v_mul_hi_u32 v7, s0, v3
	v_mul_lo_u32 v9, s4, v3
	v_mul_lo_u32 v8, s0, v4
	s_delay_alu instid0(VALU_DEP_1) | instskip(SKIP_1) | instid1(VALU_DEP_2)
	v_add_nc_u32_e32 v7, v7, v8
	v_mul_lo_u32 v8, s0, v3
	v_add_nc_u32_e32 v7, v7, v9
	s_delay_alu instid0(VALU_DEP_2) | instskip(NEXT) | instid1(VALU_DEP_2)
	v_mul_hi_u32 v9, v3, v8
	v_mul_lo_u32 v10, v3, v7
	v_mul_hi_u32 v11, v3, v7
	v_mul_hi_u32 v12, v4, v8
	v_mul_lo_u32 v8, v4, v8
	v_mul_hi_u32 v13, v4, v7
	v_mul_lo_u32 v7, v4, v7
	v_add_co_u32 v9, vcc_lo, v9, v10
	v_add_co_ci_u32_e32 v10, vcc_lo, 0, v11, vcc_lo
	s_delay_alu instid0(VALU_DEP_2) | instskip(NEXT) | instid1(VALU_DEP_2)
	v_add_co_u32 v8, vcc_lo, v9, v8
	v_add_co_ci_u32_e32 v8, vcc_lo, v10, v12, vcc_lo
	v_add_co_ci_u32_e32 v9, vcc_lo, 0, v13, vcc_lo
	s_delay_alu instid0(VALU_DEP_2) | instskip(NEXT) | instid1(VALU_DEP_2)
	v_add_co_u32 v7, vcc_lo, v8, v7
	v_add_co_ci_u32_e32 v8, vcc_lo, 0, v9, vcc_lo
	s_delay_alu instid0(VALU_DEP_2) | instskip(NEXT) | instid1(VALU_DEP_2)
	v_add_co_u32 v9, vcc_lo, v3, v7
	v_add_co_ci_u32_e32 v11, vcc_lo, v4, v8, vcc_lo
	s_delay_alu instid0(VALU_DEP_2) | instskip(SKIP_1) | instid1(VALU_DEP_3)
	v_mul_hi_u32 v12, v5, v9
	v_mad_u64_u32 v[7:8], null, v6, v9, 0
	v_mad_u64_u32 v[3:4], null, v5, v11, 0
	;; [unrolled: 1-line block ×3, first 2 shown]
	s_delay_alu instid0(VALU_DEP_2) | instskip(NEXT) | instid1(VALU_DEP_3)
	v_add_co_u32 v3, vcc_lo, v12, v3
	v_add_co_ci_u32_e32 v4, vcc_lo, 0, v4, vcc_lo
	s_delay_alu instid0(VALU_DEP_2) | instskip(NEXT) | instid1(VALU_DEP_2)
	v_add_co_u32 v3, vcc_lo, v3, v7
	v_add_co_ci_u32_e32 v3, vcc_lo, v4, v8, vcc_lo
	v_add_co_ci_u32_e32 v4, vcc_lo, 0, v10, vcc_lo
	s_delay_alu instid0(VALU_DEP_2) | instskip(NEXT) | instid1(VALU_DEP_2)
	v_add_co_u32 v7, vcc_lo, v3, v9
	v_add_co_ci_u32_e32 v8, vcc_lo, 0, v4, vcc_lo
	s_delay_alu instid0(VALU_DEP_2) | instskip(SKIP_1) | instid1(VALU_DEP_3)
	v_mul_lo_u32 v9, s39, v7
	v_mad_u64_u32 v[3:4], null, s38, v7, 0
	v_mul_lo_u32 v10, s38, v8
	s_delay_alu instid0(VALU_DEP_2) | instskip(NEXT) | instid1(VALU_DEP_2)
	v_sub_co_u32 v3, vcc_lo, v5, v3
	v_add3_u32 v4, v4, v10, v9
	s_delay_alu instid0(VALU_DEP_1) | instskip(NEXT) | instid1(VALU_DEP_1)
	v_sub_nc_u32_e32 v9, v6, v4
	v_subrev_co_ci_u32_e64 v5, s0, s39, v9, vcc_lo
	v_add_co_u32 v9, s0, v7, 2
	s_delay_alu instid0(VALU_DEP_1) | instskip(SKIP_3) | instid1(VALU_DEP_3)
	v_add_co_ci_u32_e64 v10, s0, 0, v8, s0
	v_sub_co_u32 v11, s0, v3, s38
	v_sub_co_ci_u32_e32 v4, vcc_lo, v6, v4, vcc_lo
	v_subrev_co_ci_u32_e64 v5, s0, 0, v5, s0
	v_cmp_le_u32_e32 vcc_lo, s38, v11
	s_delay_alu instid0(VALU_DEP_3) | instskip(SKIP_1) | instid1(VALU_DEP_4)
	v_cmp_eq_u32_e64 s0, s39, v4
	v_cndmask_b32_e64 v6, 0, -1, vcc_lo
	v_cmp_le_u32_e32 vcc_lo, s39, v5
	v_cndmask_b32_e64 v11, 0, -1, vcc_lo
	v_cmp_le_u32_e32 vcc_lo, s38, v3
	;; [unrolled: 2-line block ×3, first 2 shown]
	v_cndmask_b32_e64 v12, 0, -1, vcc_lo
	v_cmp_eq_u32_e32 vcc_lo, s39, v5
	s_delay_alu instid0(VALU_DEP_2) | instskip(SKIP_3) | instid1(VALU_DEP_3)
	v_cndmask_b32_e64 v3, v12, v3, s0
	v_cndmask_b32_e32 v5, v11, v6, vcc_lo
	v_add_co_u32 v6, vcc_lo, v7, 1
	v_add_co_ci_u32_e32 v11, vcc_lo, 0, v8, vcc_lo
	v_cmp_ne_u32_e32 vcc_lo, 0, v5
	s_delay_alu instid0(VALU_DEP_2) | instskip(SKIP_1) | instid1(VALU_DEP_2)
	v_dual_cndmask_b32 v4, v11, v10 :: v_dual_cndmask_b32 v5, v6, v9
	v_cmp_ne_u32_e32 vcc_lo, 0, v3
	v_dual_cndmask_b32 v4, v8, v4 :: v_dual_cndmask_b32 v3, v7, v5
                                        ; implicit-def: $vgpr5
.LBB43_169:
	s_and_not1_saveexec_b32 s0, s1
	s_cbranch_execz .LBB43_171
; %bb.170:
	v_cvt_f32_u32_e32 v3, s38
	s_sub_i32 s1, 0, s38
	s_delay_alu instid0(VALU_DEP_1) | instskip(SKIP_2) | instid1(VALU_DEP_1)
	v_rcp_iflag_f32_e32 v3, v3
	s_waitcnt_depctr 0xfff
	v_mul_f32_e32 v3, 0x4f7ffffe, v3
	v_cvt_u32_f32_e32 v3, v3
	s_delay_alu instid0(VALU_DEP_1) | instskip(NEXT) | instid1(VALU_DEP_1)
	v_mul_lo_u32 v4, s1, v3
	v_mul_hi_u32 v4, v3, v4
	s_delay_alu instid0(VALU_DEP_1) | instskip(NEXT) | instid1(VALU_DEP_1)
	v_add_nc_u32_e32 v3, v3, v4
	v_mul_hi_u32 v3, v5, v3
	s_delay_alu instid0(VALU_DEP_1) | instskip(NEXT) | instid1(VALU_DEP_1)
	v_mul_lo_u32 v4, v3, s38
	v_sub_nc_u32_e32 v4, v5, v4
	v_add_nc_u32_e32 v5, 1, v3
	s_delay_alu instid0(VALU_DEP_2) | instskip(SKIP_1) | instid1(VALU_DEP_2)
	v_subrev_nc_u32_e32 v6, s38, v4
	v_cmp_le_u32_e32 vcc_lo, s38, v4
	v_dual_cndmask_b32 v4, v4, v6 :: v_dual_cndmask_b32 v3, v3, v5
	s_delay_alu instid0(VALU_DEP_1) | instskip(NEXT) | instid1(VALU_DEP_2)
	v_cmp_le_u32_e32 vcc_lo, s38, v4
	v_dual_mov_b32 v4, 0 :: v_dual_add_nc_u32 v5, 1, v3
	s_delay_alu instid0(VALU_DEP_1)
	v_cndmask_b32_e32 v3, v3, v5, vcc_lo
.LBB43_171:
	s_or_b32 exec_lo, exec_lo, s0
	v_add_co_u32 v7, vcc_lo, 0x200, v31
	v_add_co_ci_u32_e32 v8, vcc_lo, 0, v32, vcc_lo
	v_mov_b32_e32 v5, 0
	s_delay_alu instid0(VALU_DEP_2) | instskip(NEXT) | instid1(VALU_DEP_1)
	v_or_b32_e32 v6, s39, v8
	v_cmp_ne_u64_e32 vcc_lo, 0, v[5:6]
                                        ; implicit-def: $vgpr5_vgpr6
	s_and_saveexec_b32 s0, vcc_lo
	s_delay_alu instid0(SALU_CYCLE_1)
	s_xor_b32 s1, exec_lo, s0
	s_cbranch_execz .LBB43_173
; %bb.172:
	v_cvt_f32_u32_e32 v5, s38
	v_cvt_f32_u32_e32 v6, s39
	s_sub_u32 s0, 0, s38
	s_subb_u32 s4, 0, s39
	s_delay_alu instid0(VALU_DEP_1) | instskip(NEXT) | instid1(VALU_DEP_1)
	v_fmamk_f32 v5, v6, 0x4f800000, v5
	v_rcp_f32_e32 v5, v5
	s_waitcnt_depctr 0xfff
	v_mul_f32_e32 v5, 0x5f7ffffc, v5
	s_delay_alu instid0(VALU_DEP_1) | instskip(NEXT) | instid1(VALU_DEP_1)
	v_mul_f32_e32 v6, 0x2f800000, v5
	v_trunc_f32_e32 v6, v6
	s_delay_alu instid0(VALU_DEP_1) | instskip(SKIP_1) | instid1(VALU_DEP_2)
	v_fmamk_f32 v5, v6, 0xcf800000, v5
	v_cvt_u32_f32_e32 v6, v6
	v_cvt_u32_f32_e32 v5, v5
	s_delay_alu instid0(VALU_DEP_2) | instskip(NEXT) | instid1(VALU_DEP_2)
	v_mul_lo_u32 v9, s0, v6
	v_mul_hi_u32 v10, s0, v5
	v_mul_lo_u32 v11, s4, v5
	s_delay_alu instid0(VALU_DEP_2) | instskip(SKIP_1) | instid1(VALU_DEP_2)
	v_add_nc_u32_e32 v9, v10, v9
	v_mul_lo_u32 v10, s0, v5
	v_add_nc_u32_e32 v9, v9, v11
	s_delay_alu instid0(VALU_DEP_2) | instskip(NEXT) | instid1(VALU_DEP_2)
	v_mul_hi_u32 v11, v5, v10
	v_mul_lo_u32 v12, v5, v9
	v_mul_hi_u32 v13, v5, v9
	v_mul_hi_u32 v14, v6, v10
	v_mul_lo_u32 v10, v6, v10
	v_mul_hi_u32 v15, v6, v9
	v_mul_lo_u32 v9, v6, v9
	v_add_co_u32 v11, vcc_lo, v11, v12
	v_add_co_ci_u32_e32 v12, vcc_lo, 0, v13, vcc_lo
	s_delay_alu instid0(VALU_DEP_2) | instskip(NEXT) | instid1(VALU_DEP_2)
	v_add_co_u32 v10, vcc_lo, v11, v10
	v_add_co_ci_u32_e32 v10, vcc_lo, v12, v14, vcc_lo
	v_add_co_ci_u32_e32 v11, vcc_lo, 0, v15, vcc_lo
	s_delay_alu instid0(VALU_DEP_2) | instskip(NEXT) | instid1(VALU_DEP_2)
	v_add_co_u32 v9, vcc_lo, v10, v9
	v_add_co_ci_u32_e32 v10, vcc_lo, 0, v11, vcc_lo
	s_delay_alu instid0(VALU_DEP_2) | instskip(NEXT) | instid1(VALU_DEP_2)
	v_add_co_u32 v5, vcc_lo, v5, v9
	v_add_co_ci_u32_e32 v6, vcc_lo, v6, v10, vcc_lo
	s_delay_alu instid0(VALU_DEP_2) | instskip(SKIP_1) | instid1(VALU_DEP_3)
	v_mul_hi_u32 v9, s0, v5
	v_mul_lo_u32 v11, s4, v5
	v_mul_lo_u32 v10, s0, v6
	s_delay_alu instid0(VALU_DEP_1) | instskip(SKIP_1) | instid1(VALU_DEP_2)
	v_add_nc_u32_e32 v9, v9, v10
	v_mul_lo_u32 v10, s0, v5
	v_add_nc_u32_e32 v9, v9, v11
	s_delay_alu instid0(VALU_DEP_2) | instskip(NEXT) | instid1(VALU_DEP_2)
	v_mul_hi_u32 v11, v5, v10
	v_mul_lo_u32 v12, v5, v9
	v_mul_hi_u32 v13, v5, v9
	v_mul_hi_u32 v14, v6, v10
	v_mul_lo_u32 v10, v6, v10
	v_mul_hi_u32 v15, v6, v9
	v_mul_lo_u32 v9, v6, v9
	v_add_co_u32 v11, vcc_lo, v11, v12
	v_add_co_ci_u32_e32 v12, vcc_lo, 0, v13, vcc_lo
	s_delay_alu instid0(VALU_DEP_2) | instskip(NEXT) | instid1(VALU_DEP_2)
	v_add_co_u32 v10, vcc_lo, v11, v10
	v_add_co_ci_u32_e32 v10, vcc_lo, v12, v14, vcc_lo
	v_add_co_ci_u32_e32 v11, vcc_lo, 0, v15, vcc_lo
	s_delay_alu instid0(VALU_DEP_2) | instskip(NEXT) | instid1(VALU_DEP_2)
	v_add_co_u32 v9, vcc_lo, v10, v9
	v_add_co_ci_u32_e32 v10, vcc_lo, 0, v11, vcc_lo
	s_delay_alu instid0(VALU_DEP_2) | instskip(NEXT) | instid1(VALU_DEP_2)
	v_add_co_u32 v11, vcc_lo, v5, v9
	v_add_co_ci_u32_e32 v13, vcc_lo, v6, v10, vcc_lo
	s_delay_alu instid0(VALU_DEP_2) | instskip(SKIP_1) | instid1(VALU_DEP_3)
	v_mul_hi_u32 v14, v7, v11
	v_mad_u64_u32 v[9:10], null, v8, v11, 0
	v_mad_u64_u32 v[5:6], null, v7, v13, 0
	;; [unrolled: 1-line block ×3, first 2 shown]
	s_delay_alu instid0(VALU_DEP_2) | instskip(NEXT) | instid1(VALU_DEP_3)
	v_add_co_u32 v5, vcc_lo, v14, v5
	v_add_co_ci_u32_e32 v6, vcc_lo, 0, v6, vcc_lo
	s_delay_alu instid0(VALU_DEP_2) | instskip(NEXT) | instid1(VALU_DEP_2)
	v_add_co_u32 v5, vcc_lo, v5, v9
	v_add_co_ci_u32_e32 v5, vcc_lo, v6, v10, vcc_lo
	v_add_co_ci_u32_e32 v6, vcc_lo, 0, v12, vcc_lo
	s_delay_alu instid0(VALU_DEP_2) | instskip(NEXT) | instid1(VALU_DEP_2)
	v_add_co_u32 v9, vcc_lo, v5, v11
	v_add_co_ci_u32_e32 v10, vcc_lo, 0, v6, vcc_lo
	s_delay_alu instid0(VALU_DEP_2) | instskip(SKIP_1) | instid1(VALU_DEP_3)
	v_mul_lo_u32 v11, s39, v9
	v_mad_u64_u32 v[5:6], null, s38, v9, 0
	v_mul_lo_u32 v12, s38, v10
	s_delay_alu instid0(VALU_DEP_2) | instskip(NEXT) | instid1(VALU_DEP_2)
	v_sub_co_u32 v5, vcc_lo, v7, v5
	v_add3_u32 v6, v6, v12, v11
	s_delay_alu instid0(VALU_DEP_1) | instskip(NEXT) | instid1(VALU_DEP_1)
	v_sub_nc_u32_e32 v11, v8, v6
	v_subrev_co_ci_u32_e64 v7, s0, s39, v11, vcc_lo
	v_add_co_u32 v11, s0, v9, 2
	s_delay_alu instid0(VALU_DEP_1) | instskip(SKIP_3) | instid1(VALU_DEP_3)
	v_add_co_ci_u32_e64 v12, s0, 0, v10, s0
	v_sub_co_u32 v13, s0, v5, s38
	v_sub_co_ci_u32_e32 v6, vcc_lo, v8, v6, vcc_lo
	v_subrev_co_ci_u32_e64 v7, s0, 0, v7, s0
	v_cmp_le_u32_e32 vcc_lo, s38, v13
	s_delay_alu instid0(VALU_DEP_3) | instskip(SKIP_1) | instid1(VALU_DEP_4)
	v_cmp_eq_u32_e64 s0, s39, v6
	v_cndmask_b32_e64 v8, 0, -1, vcc_lo
	v_cmp_le_u32_e32 vcc_lo, s39, v7
	v_cndmask_b32_e64 v13, 0, -1, vcc_lo
	v_cmp_le_u32_e32 vcc_lo, s38, v5
	;; [unrolled: 2-line block ×3, first 2 shown]
	v_cndmask_b32_e64 v14, 0, -1, vcc_lo
	v_cmp_eq_u32_e32 vcc_lo, s39, v7
	s_delay_alu instid0(VALU_DEP_2) | instskip(SKIP_3) | instid1(VALU_DEP_3)
	v_cndmask_b32_e64 v5, v14, v5, s0
	v_cndmask_b32_e32 v7, v13, v8, vcc_lo
	v_add_co_u32 v8, vcc_lo, v9, 1
	v_add_co_ci_u32_e32 v13, vcc_lo, 0, v10, vcc_lo
	v_cmp_ne_u32_e32 vcc_lo, 0, v7
	s_delay_alu instid0(VALU_DEP_2) | instskip(SKIP_1) | instid1(VALU_DEP_2)
	v_dual_cndmask_b32 v6, v13, v12 :: v_dual_cndmask_b32 v7, v8, v11
	v_cmp_ne_u32_e32 vcc_lo, 0, v5
	v_dual_cndmask_b32 v6, v10, v6 :: v_dual_cndmask_b32 v5, v9, v7
                                        ; implicit-def: $vgpr7
.LBB43_173:
	s_and_not1_saveexec_b32 s0, s1
	s_cbranch_execz .LBB43_175
; %bb.174:
	v_cvt_f32_u32_e32 v5, s38
	s_sub_i32 s1, 0, s38
	s_delay_alu instid0(VALU_DEP_1) | instskip(SKIP_2) | instid1(VALU_DEP_1)
	v_rcp_iflag_f32_e32 v5, v5
	s_waitcnt_depctr 0xfff
	v_mul_f32_e32 v5, 0x4f7ffffe, v5
	v_cvt_u32_f32_e32 v5, v5
	s_delay_alu instid0(VALU_DEP_1) | instskip(NEXT) | instid1(VALU_DEP_1)
	v_mul_lo_u32 v6, s1, v5
	v_mul_hi_u32 v6, v5, v6
	s_delay_alu instid0(VALU_DEP_1) | instskip(NEXT) | instid1(VALU_DEP_1)
	v_add_nc_u32_e32 v5, v5, v6
	v_mul_hi_u32 v5, v7, v5
	s_delay_alu instid0(VALU_DEP_1) | instskip(NEXT) | instid1(VALU_DEP_1)
	v_mul_lo_u32 v6, v5, s38
	v_sub_nc_u32_e32 v6, v7, v6
	v_add_nc_u32_e32 v7, 1, v5
	s_delay_alu instid0(VALU_DEP_2) | instskip(SKIP_1) | instid1(VALU_DEP_2)
	v_subrev_nc_u32_e32 v8, s38, v6
	v_cmp_le_u32_e32 vcc_lo, s38, v6
	v_dual_cndmask_b32 v6, v6, v8 :: v_dual_cndmask_b32 v5, v5, v7
	s_delay_alu instid0(VALU_DEP_1) | instskip(NEXT) | instid1(VALU_DEP_2)
	v_cmp_le_u32_e32 vcc_lo, s38, v6
	v_dual_mov_b32 v6, 0 :: v_dual_add_nc_u32 v7, 1, v5
	s_delay_alu instid0(VALU_DEP_1)
	v_cndmask_b32_e32 v5, v5, v7, vcc_lo
.LBB43_175:
	s_or_b32 exec_lo, exec_lo, s0
	v_add_co_u32 v9, vcc_lo, 0x300, v31
	v_add_co_ci_u32_e32 v10, vcc_lo, 0, v32, vcc_lo
	v_mov_b32_e32 v7, 0
	s_delay_alu instid0(VALU_DEP_2) | instskip(NEXT) | instid1(VALU_DEP_1)
	v_or_b32_e32 v8, s39, v10
	v_cmp_ne_u64_e32 vcc_lo, 0, v[7:8]
                                        ; implicit-def: $vgpr7_vgpr8
	s_and_saveexec_b32 s0, vcc_lo
	s_delay_alu instid0(SALU_CYCLE_1)
	s_xor_b32 s1, exec_lo, s0
	s_cbranch_execz .LBB43_177
; %bb.176:
	v_cvt_f32_u32_e32 v7, s38
	v_cvt_f32_u32_e32 v8, s39
	s_sub_u32 s0, 0, s38
	s_subb_u32 s4, 0, s39
	s_delay_alu instid0(VALU_DEP_1) | instskip(NEXT) | instid1(VALU_DEP_1)
	v_fmamk_f32 v7, v8, 0x4f800000, v7
	v_rcp_f32_e32 v7, v7
	s_waitcnt_depctr 0xfff
	v_mul_f32_e32 v7, 0x5f7ffffc, v7
	s_delay_alu instid0(VALU_DEP_1) | instskip(NEXT) | instid1(VALU_DEP_1)
	v_mul_f32_e32 v8, 0x2f800000, v7
	v_trunc_f32_e32 v8, v8
	s_delay_alu instid0(VALU_DEP_1) | instskip(SKIP_1) | instid1(VALU_DEP_2)
	v_fmamk_f32 v7, v8, 0xcf800000, v7
	v_cvt_u32_f32_e32 v8, v8
	v_cvt_u32_f32_e32 v7, v7
	s_delay_alu instid0(VALU_DEP_2) | instskip(NEXT) | instid1(VALU_DEP_2)
	v_mul_lo_u32 v11, s0, v8
	v_mul_hi_u32 v12, s0, v7
	v_mul_lo_u32 v13, s4, v7
	s_delay_alu instid0(VALU_DEP_2) | instskip(SKIP_1) | instid1(VALU_DEP_2)
	v_add_nc_u32_e32 v11, v12, v11
	v_mul_lo_u32 v12, s0, v7
	v_add_nc_u32_e32 v11, v11, v13
	s_delay_alu instid0(VALU_DEP_2) | instskip(NEXT) | instid1(VALU_DEP_2)
	v_mul_hi_u32 v13, v7, v12
	v_mul_lo_u32 v14, v7, v11
	v_mul_hi_u32 v15, v7, v11
	v_mul_hi_u32 v16, v8, v12
	v_mul_lo_u32 v12, v8, v12
	v_mul_hi_u32 v17, v8, v11
	v_mul_lo_u32 v11, v8, v11
	v_add_co_u32 v13, vcc_lo, v13, v14
	v_add_co_ci_u32_e32 v14, vcc_lo, 0, v15, vcc_lo
	s_delay_alu instid0(VALU_DEP_2) | instskip(NEXT) | instid1(VALU_DEP_2)
	v_add_co_u32 v12, vcc_lo, v13, v12
	v_add_co_ci_u32_e32 v12, vcc_lo, v14, v16, vcc_lo
	v_add_co_ci_u32_e32 v13, vcc_lo, 0, v17, vcc_lo
	s_delay_alu instid0(VALU_DEP_2) | instskip(NEXT) | instid1(VALU_DEP_2)
	v_add_co_u32 v11, vcc_lo, v12, v11
	v_add_co_ci_u32_e32 v12, vcc_lo, 0, v13, vcc_lo
	s_delay_alu instid0(VALU_DEP_2) | instskip(NEXT) | instid1(VALU_DEP_2)
	v_add_co_u32 v7, vcc_lo, v7, v11
	v_add_co_ci_u32_e32 v8, vcc_lo, v8, v12, vcc_lo
	s_delay_alu instid0(VALU_DEP_2) | instskip(SKIP_1) | instid1(VALU_DEP_3)
	v_mul_hi_u32 v11, s0, v7
	v_mul_lo_u32 v13, s4, v7
	v_mul_lo_u32 v12, s0, v8
	s_delay_alu instid0(VALU_DEP_1) | instskip(SKIP_1) | instid1(VALU_DEP_2)
	v_add_nc_u32_e32 v11, v11, v12
	v_mul_lo_u32 v12, s0, v7
	v_add_nc_u32_e32 v11, v11, v13
	s_delay_alu instid0(VALU_DEP_2) | instskip(NEXT) | instid1(VALU_DEP_2)
	v_mul_hi_u32 v13, v7, v12
	v_mul_lo_u32 v14, v7, v11
	v_mul_hi_u32 v15, v7, v11
	v_mul_hi_u32 v16, v8, v12
	v_mul_lo_u32 v12, v8, v12
	v_mul_hi_u32 v17, v8, v11
	v_mul_lo_u32 v11, v8, v11
	v_add_co_u32 v13, vcc_lo, v13, v14
	v_add_co_ci_u32_e32 v14, vcc_lo, 0, v15, vcc_lo
	s_delay_alu instid0(VALU_DEP_2) | instskip(NEXT) | instid1(VALU_DEP_2)
	v_add_co_u32 v12, vcc_lo, v13, v12
	v_add_co_ci_u32_e32 v12, vcc_lo, v14, v16, vcc_lo
	v_add_co_ci_u32_e32 v13, vcc_lo, 0, v17, vcc_lo
	s_delay_alu instid0(VALU_DEP_2) | instskip(NEXT) | instid1(VALU_DEP_2)
	v_add_co_u32 v11, vcc_lo, v12, v11
	v_add_co_ci_u32_e32 v12, vcc_lo, 0, v13, vcc_lo
	s_delay_alu instid0(VALU_DEP_2) | instskip(NEXT) | instid1(VALU_DEP_2)
	v_add_co_u32 v13, vcc_lo, v7, v11
	v_add_co_ci_u32_e32 v15, vcc_lo, v8, v12, vcc_lo
	s_delay_alu instid0(VALU_DEP_2) | instskip(SKIP_1) | instid1(VALU_DEP_3)
	v_mul_hi_u32 v16, v9, v13
	v_mad_u64_u32 v[11:12], null, v10, v13, 0
	v_mad_u64_u32 v[7:8], null, v9, v15, 0
	;; [unrolled: 1-line block ×3, first 2 shown]
	s_delay_alu instid0(VALU_DEP_2) | instskip(NEXT) | instid1(VALU_DEP_3)
	v_add_co_u32 v7, vcc_lo, v16, v7
	v_add_co_ci_u32_e32 v8, vcc_lo, 0, v8, vcc_lo
	s_delay_alu instid0(VALU_DEP_2) | instskip(NEXT) | instid1(VALU_DEP_2)
	v_add_co_u32 v7, vcc_lo, v7, v11
	v_add_co_ci_u32_e32 v7, vcc_lo, v8, v12, vcc_lo
	v_add_co_ci_u32_e32 v8, vcc_lo, 0, v14, vcc_lo
	s_delay_alu instid0(VALU_DEP_2) | instskip(NEXT) | instid1(VALU_DEP_2)
	v_add_co_u32 v11, vcc_lo, v7, v13
	v_add_co_ci_u32_e32 v12, vcc_lo, 0, v8, vcc_lo
	s_delay_alu instid0(VALU_DEP_2) | instskip(SKIP_1) | instid1(VALU_DEP_3)
	v_mul_lo_u32 v13, s39, v11
	v_mad_u64_u32 v[7:8], null, s38, v11, 0
	v_mul_lo_u32 v14, s38, v12
	s_delay_alu instid0(VALU_DEP_2) | instskip(NEXT) | instid1(VALU_DEP_2)
	v_sub_co_u32 v7, vcc_lo, v9, v7
	v_add3_u32 v8, v8, v14, v13
	s_delay_alu instid0(VALU_DEP_1) | instskip(NEXT) | instid1(VALU_DEP_1)
	v_sub_nc_u32_e32 v13, v10, v8
	v_subrev_co_ci_u32_e64 v9, s0, s39, v13, vcc_lo
	v_add_co_u32 v13, s0, v11, 2
	s_delay_alu instid0(VALU_DEP_1) | instskip(SKIP_3) | instid1(VALU_DEP_3)
	v_add_co_ci_u32_e64 v14, s0, 0, v12, s0
	v_sub_co_u32 v15, s0, v7, s38
	v_sub_co_ci_u32_e32 v8, vcc_lo, v10, v8, vcc_lo
	v_subrev_co_ci_u32_e64 v9, s0, 0, v9, s0
	v_cmp_le_u32_e32 vcc_lo, s38, v15
	s_delay_alu instid0(VALU_DEP_3) | instskip(SKIP_1) | instid1(VALU_DEP_4)
	v_cmp_eq_u32_e64 s0, s39, v8
	v_cndmask_b32_e64 v10, 0, -1, vcc_lo
	v_cmp_le_u32_e32 vcc_lo, s39, v9
	v_cndmask_b32_e64 v15, 0, -1, vcc_lo
	v_cmp_le_u32_e32 vcc_lo, s38, v7
	;; [unrolled: 2-line block ×3, first 2 shown]
	v_cndmask_b32_e64 v16, 0, -1, vcc_lo
	v_cmp_eq_u32_e32 vcc_lo, s39, v9
	s_delay_alu instid0(VALU_DEP_2) | instskip(SKIP_3) | instid1(VALU_DEP_3)
	v_cndmask_b32_e64 v7, v16, v7, s0
	v_cndmask_b32_e32 v9, v15, v10, vcc_lo
	v_add_co_u32 v10, vcc_lo, v11, 1
	v_add_co_ci_u32_e32 v15, vcc_lo, 0, v12, vcc_lo
	v_cmp_ne_u32_e32 vcc_lo, 0, v9
	s_delay_alu instid0(VALU_DEP_2) | instskip(SKIP_1) | instid1(VALU_DEP_2)
	v_dual_cndmask_b32 v8, v15, v14 :: v_dual_cndmask_b32 v9, v10, v13
	v_cmp_ne_u32_e32 vcc_lo, 0, v7
	v_dual_cndmask_b32 v8, v12, v8 :: v_dual_cndmask_b32 v7, v11, v9
                                        ; implicit-def: $vgpr9
.LBB43_177:
	s_and_not1_saveexec_b32 s0, s1
	s_cbranch_execz .LBB43_179
; %bb.178:
	v_cvt_f32_u32_e32 v7, s38
	s_sub_i32 s1, 0, s38
	s_delay_alu instid0(VALU_DEP_1) | instskip(SKIP_2) | instid1(VALU_DEP_1)
	v_rcp_iflag_f32_e32 v7, v7
	s_waitcnt_depctr 0xfff
	v_mul_f32_e32 v7, 0x4f7ffffe, v7
	v_cvt_u32_f32_e32 v7, v7
	s_delay_alu instid0(VALU_DEP_1) | instskip(NEXT) | instid1(VALU_DEP_1)
	v_mul_lo_u32 v8, s1, v7
	v_mul_hi_u32 v8, v7, v8
	s_delay_alu instid0(VALU_DEP_1) | instskip(NEXT) | instid1(VALU_DEP_1)
	v_add_nc_u32_e32 v7, v7, v8
	v_mul_hi_u32 v7, v9, v7
	s_delay_alu instid0(VALU_DEP_1) | instskip(NEXT) | instid1(VALU_DEP_1)
	v_mul_lo_u32 v8, v7, s38
	v_sub_nc_u32_e32 v8, v9, v8
	v_add_nc_u32_e32 v9, 1, v7
	s_delay_alu instid0(VALU_DEP_2) | instskip(SKIP_1) | instid1(VALU_DEP_2)
	v_subrev_nc_u32_e32 v10, s38, v8
	v_cmp_le_u32_e32 vcc_lo, s38, v8
	v_dual_cndmask_b32 v8, v8, v10 :: v_dual_cndmask_b32 v7, v7, v9
	s_delay_alu instid0(VALU_DEP_1) | instskip(NEXT) | instid1(VALU_DEP_2)
	v_cmp_le_u32_e32 vcc_lo, s38, v8
	v_dual_mov_b32 v8, 0 :: v_dual_add_nc_u32 v9, 1, v7
	s_delay_alu instid0(VALU_DEP_1)
	v_cndmask_b32_e32 v7, v7, v9, vcc_lo
.LBB43_179:
	s_or_b32 exec_lo, exec_lo, s0
	v_add_co_u32 v11, vcc_lo, 0x400, v31
	v_add_co_ci_u32_e32 v12, vcc_lo, 0, v32, vcc_lo
	v_mov_b32_e32 v9, 0
	s_delay_alu instid0(VALU_DEP_2) | instskip(NEXT) | instid1(VALU_DEP_1)
	v_or_b32_e32 v10, s39, v12
	v_cmp_ne_u64_e32 vcc_lo, 0, v[9:10]
                                        ; implicit-def: $vgpr9_vgpr10
	s_and_saveexec_b32 s0, vcc_lo
	s_delay_alu instid0(SALU_CYCLE_1)
	s_xor_b32 s1, exec_lo, s0
	s_cbranch_execz .LBB43_181
; %bb.180:
	v_cvt_f32_u32_e32 v9, s38
	v_cvt_f32_u32_e32 v10, s39
	s_sub_u32 s0, 0, s38
	s_subb_u32 s4, 0, s39
	s_delay_alu instid0(VALU_DEP_1) | instskip(NEXT) | instid1(VALU_DEP_1)
	v_fmamk_f32 v9, v10, 0x4f800000, v9
	v_rcp_f32_e32 v9, v9
	s_waitcnt_depctr 0xfff
	v_mul_f32_e32 v9, 0x5f7ffffc, v9
	s_delay_alu instid0(VALU_DEP_1) | instskip(NEXT) | instid1(VALU_DEP_1)
	v_mul_f32_e32 v10, 0x2f800000, v9
	v_trunc_f32_e32 v10, v10
	s_delay_alu instid0(VALU_DEP_1) | instskip(SKIP_1) | instid1(VALU_DEP_2)
	v_fmamk_f32 v9, v10, 0xcf800000, v9
	v_cvt_u32_f32_e32 v10, v10
	v_cvt_u32_f32_e32 v9, v9
	s_delay_alu instid0(VALU_DEP_2) | instskip(NEXT) | instid1(VALU_DEP_2)
	v_mul_lo_u32 v13, s0, v10
	v_mul_hi_u32 v14, s0, v9
	v_mul_lo_u32 v15, s4, v9
	s_delay_alu instid0(VALU_DEP_2) | instskip(SKIP_1) | instid1(VALU_DEP_2)
	v_add_nc_u32_e32 v13, v14, v13
	v_mul_lo_u32 v14, s0, v9
	v_add_nc_u32_e32 v13, v13, v15
	s_delay_alu instid0(VALU_DEP_2) | instskip(NEXT) | instid1(VALU_DEP_2)
	v_mul_hi_u32 v15, v9, v14
	v_mul_lo_u32 v16, v9, v13
	v_mul_hi_u32 v17, v9, v13
	v_mul_hi_u32 v18, v10, v14
	v_mul_lo_u32 v14, v10, v14
	v_mul_hi_u32 v19, v10, v13
	v_mul_lo_u32 v13, v10, v13
	v_add_co_u32 v15, vcc_lo, v15, v16
	v_add_co_ci_u32_e32 v16, vcc_lo, 0, v17, vcc_lo
	s_delay_alu instid0(VALU_DEP_2) | instskip(NEXT) | instid1(VALU_DEP_2)
	v_add_co_u32 v14, vcc_lo, v15, v14
	v_add_co_ci_u32_e32 v14, vcc_lo, v16, v18, vcc_lo
	v_add_co_ci_u32_e32 v15, vcc_lo, 0, v19, vcc_lo
	s_delay_alu instid0(VALU_DEP_2) | instskip(NEXT) | instid1(VALU_DEP_2)
	v_add_co_u32 v13, vcc_lo, v14, v13
	v_add_co_ci_u32_e32 v14, vcc_lo, 0, v15, vcc_lo
	s_delay_alu instid0(VALU_DEP_2) | instskip(NEXT) | instid1(VALU_DEP_2)
	v_add_co_u32 v9, vcc_lo, v9, v13
	v_add_co_ci_u32_e32 v10, vcc_lo, v10, v14, vcc_lo
	s_delay_alu instid0(VALU_DEP_2) | instskip(SKIP_1) | instid1(VALU_DEP_3)
	v_mul_hi_u32 v13, s0, v9
	v_mul_lo_u32 v15, s4, v9
	v_mul_lo_u32 v14, s0, v10
	s_delay_alu instid0(VALU_DEP_1) | instskip(SKIP_1) | instid1(VALU_DEP_2)
	v_add_nc_u32_e32 v13, v13, v14
	v_mul_lo_u32 v14, s0, v9
	v_add_nc_u32_e32 v13, v13, v15
	s_delay_alu instid0(VALU_DEP_2) | instskip(NEXT) | instid1(VALU_DEP_2)
	v_mul_hi_u32 v15, v9, v14
	v_mul_lo_u32 v16, v9, v13
	v_mul_hi_u32 v17, v9, v13
	v_mul_hi_u32 v18, v10, v14
	v_mul_lo_u32 v14, v10, v14
	v_mul_hi_u32 v19, v10, v13
	v_mul_lo_u32 v13, v10, v13
	v_add_co_u32 v15, vcc_lo, v15, v16
	v_add_co_ci_u32_e32 v16, vcc_lo, 0, v17, vcc_lo
	s_delay_alu instid0(VALU_DEP_2) | instskip(NEXT) | instid1(VALU_DEP_2)
	v_add_co_u32 v14, vcc_lo, v15, v14
	v_add_co_ci_u32_e32 v14, vcc_lo, v16, v18, vcc_lo
	v_add_co_ci_u32_e32 v15, vcc_lo, 0, v19, vcc_lo
	s_delay_alu instid0(VALU_DEP_2) | instskip(NEXT) | instid1(VALU_DEP_2)
	v_add_co_u32 v13, vcc_lo, v14, v13
	v_add_co_ci_u32_e32 v14, vcc_lo, 0, v15, vcc_lo
	s_delay_alu instid0(VALU_DEP_2) | instskip(NEXT) | instid1(VALU_DEP_2)
	v_add_co_u32 v15, vcc_lo, v9, v13
	v_add_co_ci_u32_e32 v17, vcc_lo, v10, v14, vcc_lo
	s_delay_alu instid0(VALU_DEP_2) | instskip(SKIP_1) | instid1(VALU_DEP_3)
	v_mul_hi_u32 v18, v11, v15
	v_mad_u64_u32 v[13:14], null, v12, v15, 0
	v_mad_u64_u32 v[9:10], null, v11, v17, 0
	;; [unrolled: 1-line block ×3, first 2 shown]
	s_delay_alu instid0(VALU_DEP_2) | instskip(NEXT) | instid1(VALU_DEP_3)
	v_add_co_u32 v9, vcc_lo, v18, v9
	v_add_co_ci_u32_e32 v10, vcc_lo, 0, v10, vcc_lo
	s_delay_alu instid0(VALU_DEP_2) | instskip(NEXT) | instid1(VALU_DEP_2)
	v_add_co_u32 v9, vcc_lo, v9, v13
	v_add_co_ci_u32_e32 v9, vcc_lo, v10, v14, vcc_lo
	v_add_co_ci_u32_e32 v10, vcc_lo, 0, v16, vcc_lo
	s_delay_alu instid0(VALU_DEP_2) | instskip(NEXT) | instid1(VALU_DEP_2)
	v_add_co_u32 v13, vcc_lo, v9, v15
	v_add_co_ci_u32_e32 v14, vcc_lo, 0, v10, vcc_lo
	s_delay_alu instid0(VALU_DEP_2) | instskip(SKIP_1) | instid1(VALU_DEP_3)
	v_mul_lo_u32 v15, s39, v13
	v_mad_u64_u32 v[9:10], null, s38, v13, 0
	v_mul_lo_u32 v16, s38, v14
	s_delay_alu instid0(VALU_DEP_2) | instskip(NEXT) | instid1(VALU_DEP_2)
	v_sub_co_u32 v9, vcc_lo, v11, v9
	v_add3_u32 v10, v10, v16, v15
	s_delay_alu instid0(VALU_DEP_1) | instskip(NEXT) | instid1(VALU_DEP_1)
	v_sub_nc_u32_e32 v15, v12, v10
	v_subrev_co_ci_u32_e64 v11, s0, s39, v15, vcc_lo
	v_add_co_u32 v15, s0, v13, 2
	s_delay_alu instid0(VALU_DEP_1) | instskip(SKIP_3) | instid1(VALU_DEP_3)
	v_add_co_ci_u32_e64 v16, s0, 0, v14, s0
	v_sub_co_u32 v17, s0, v9, s38
	v_sub_co_ci_u32_e32 v10, vcc_lo, v12, v10, vcc_lo
	v_subrev_co_ci_u32_e64 v11, s0, 0, v11, s0
	v_cmp_le_u32_e32 vcc_lo, s38, v17
	s_delay_alu instid0(VALU_DEP_3) | instskip(SKIP_1) | instid1(VALU_DEP_4)
	v_cmp_eq_u32_e64 s0, s39, v10
	v_cndmask_b32_e64 v12, 0, -1, vcc_lo
	v_cmp_le_u32_e32 vcc_lo, s39, v11
	v_cndmask_b32_e64 v17, 0, -1, vcc_lo
	v_cmp_le_u32_e32 vcc_lo, s38, v9
	;; [unrolled: 2-line block ×3, first 2 shown]
	v_cndmask_b32_e64 v18, 0, -1, vcc_lo
	v_cmp_eq_u32_e32 vcc_lo, s39, v11
	s_delay_alu instid0(VALU_DEP_2) | instskip(SKIP_3) | instid1(VALU_DEP_3)
	v_cndmask_b32_e64 v9, v18, v9, s0
	v_cndmask_b32_e32 v11, v17, v12, vcc_lo
	v_add_co_u32 v12, vcc_lo, v13, 1
	v_add_co_ci_u32_e32 v17, vcc_lo, 0, v14, vcc_lo
	v_cmp_ne_u32_e32 vcc_lo, 0, v11
	s_delay_alu instid0(VALU_DEP_2) | instskip(SKIP_1) | instid1(VALU_DEP_2)
	v_dual_cndmask_b32 v10, v17, v16 :: v_dual_cndmask_b32 v11, v12, v15
	v_cmp_ne_u32_e32 vcc_lo, 0, v9
	v_dual_cndmask_b32 v10, v14, v10 :: v_dual_cndmask_b32 v9, v13, v11
                                        ; implicit-def: $vgpr11
.LBB43_181:
	s_and_not1_saveexec_b32 s0, s1
	s_cbranch_execz .LBB43_183
; %bb.182:
	v_cvt_f32_u32_e32 v9, s38
	s_sub_i32 s1, 0, s38
	s_delay_alu instid0(VALU_DEP_1) | instskip(SKIP_2) | instid1(VALU_DEP_1)
	v_rcp_iflag_f32_e32 v9, v9
	s_waitcnt_depctr 0xfff
	v_mul_f32_e32 v9, 0x4f7ffffe, v9
	v_cvt_u32_f32_e32 v9, v9
	s_delay_alu instid0(VALU_DEP_1) | instskip(NEXT) | instid1(VALU_DEP_1)
	v_mul_lo_u32 v10, s1, v9
	v_mul_hi_u32 v10, v9, v10
	s_delay_alu instid0(VALU_DEP_1) | instskip(NEXT) | instid1(VALU_DEP_1)
	v_add_nc_u32_e32 v9, v9, v10
	v_mul_hi_u32 v9, v11, v9
	s_delay_alu instid0(VALU_DEP_1) | instskip(NEXT) | instid1(VALU_DEP_1)
	v_mul_lo_u32 v10, v9, s38
	v_sub_nc_u32_e32 v10, v11, v10
	v_add_nc_u32_e32 v11, 1, v9
	s_delay_alu instid0(VALU_DEP_2) | instskip(SKIP_1) | instid1(VALU_DEP_2)
	v_subrev_nc_u32_e32 v12, s38, v10
	v_cmp_le_u32_e32 vcc_lo, s38, v10
	v_dual_cndmask_b32 v10, v10, v12 :: v_dual_cndmask_b32 v9, v9, v11
	s_delay_alu instid0(VALU_DEP_1) | instskip(NEXT) | instid1(VALU_DEP_2)
	v_cmp_le_u32_e32 vcc_lo, s38, v10
	v_dual_mov_b32 v10, 0 :: v_dual_add_nc_u32 v11, 1, v9
	s_delay_alu instid0(VALU_DEP_1)
	v_cndmask_b32_e32 v9, v9, v11, vcc_lo
.LBB43_183:
	s_or_b32 exec_lo, exec_lo, s0
	v_add_co_u32 v13, vcc_lo, 0x500, v31
	v_add_co_ci_u32_e32 v14, vcc_lo, 0, v32, vcc_lo
	v_mov_b32_e32 v11, 0
	s_delay_alu instid0(VALU_DEP_2) | instskip(NEXT) | instid1(VALU_DEP_1)
	v_or_b32_e32 v12, s39, v14
	v_cmp_ne_u64_e32 vcc_lo, 0, v[11:12]
                                        ; implicit-def: $vgpr11_vgpr12
	s_and_saveexec_b32 s0, vcc_lo
	s_delay_alu instid0(SALU_CYCLE_1)
	s_xor_b32 s1, exec_lo, s0
	s_cbranch_execz .LBB43_185
; %bb.184:
	v_cvt_f32_u32_e32 v11, s38
	v_cvt_f32_u32_e32 v12, s39
	s_sub_u32 s0, 0, s38
	s_subb_u32 s4, 0, s39
	s_delay_alu instid0(VALU_DEP_1) | instskip(NEXT) | instid1(VALU_DEP_1)
	v_fmamk_f32 v11, v12, 0x4f800000, v11
	v_rcp_f32_e32 v11, v11
	s_waitcnt_depctr 0xfff
	v_mul_f32_e32 v11, 0x5f7ffffc, v11
	s_delay_alu instid0(VALU_DEP_1) | instskip(NEXT) | instid1(VALU_DEP_1)
	v_mul_f32_e32 v12, 0x2f800000, v11
	v_trunc_f32_e32 v12, v12
	s_delay_alu instid0(VALU_DEP_1) | instskip(SKIP_1) | instid1(VALU_DEP_2)
	v_fmamk_f32 v11, v12, 0xcf800000, v11
	v_cvt_u32_f32_e32 v12, v12
	v_cvt_u32_f32_e32 v11, v11
	s_delay_alu instid0(VALU_DEP_2) | instskip(NEXT) | instid1(VALU_DEP_2)
	v_mul_lo_u32 v15, s0, v12
	v_mul_hi_u32 v16, s0, v11
	v_mul_lo_u32 v17, s4, v11
	s_delay_alu instid0(VALU_DEP_2) | instskip(SKIP_1) | instid1(VALU_DEP_2)
	v_add_nc_u32_e32 v15, v16, v15
	v_mul_lo_u32 v16, s0, v11
	v_add_nc_u32_e32 v15, v15, v17
	s_delay_alu instid0(VALU_DEP_2) | instskip(NEXT) | instid1(VALU_DEP_2)
	v_mul_hi_u32 v17, v11, v16
	v_mul_lo_u32 v18, v11, v15
	v_mul_hi_u32 v19, v11, v15
	v_mul_hi_u32 v20, v12, v16
	v_mul_lo_u32 v16, v12, v16
	v_mul_hi_u32 v21, v12, v15
	v_mul_lo_u32 v15, v12, v15
	v_add_co_u32 v17, vcc_lo, v17, v18
	v_add_co_ci_u32_e32 v18, vcc_lo, 0, v19, vcc_lo
	s_delay_alu instid0(VALU_DEP_2) | instskip(NEXT) | instid1(VALU_DEP_2)
	v_add_co_u32 v16, vcc_lo, v17, v16
	v_add_co_ci_u32_e32 v16, vcc_lo, v18, v20, vcc_lo
	v_add_co_ci_u32_e32 v17, vcc_lo, 0, v21, vcc_lo
	s_delay_alu instid0(VALU_DEP_2) | instskip(NEXT) | instid1(VALU_DEP_2)
	v_add_co_u32 v15, vcc_lo, v16, v15
	v_add_co_ci_u32_e32 v16, vcc_lo, 0, v17, vcc_lo
	s_delay_alu instid0(VALU_DEP_2) | instskip(NEXT) | instid1(VALU_DEP_2)
	v_add_co_u32 v11, vcc_lo, v11, v15
	v_add_co_ci_u32_e32 v12, vcc_lo, v12, v16, vcc_lo
	s_delay_alu instid0(VALU_DEP_2) | instskip(SKIP_1) | instid1(VALU_DEP_3)
	v_mul_hi_u32 v15, s0, v11
	v_mul_lo_u32 v17, s4, v11
	v_mul_lo_u32 v16, s0, v12
	s_delay_alu instid0(VALU_DEP_1) | instskip(SKIP_1) | instid1(VALU_DEP_2)
	v_add_nc_u32_e32 v15, v15, v16
	v_mul_lo_u32 v16, s0, v11
	v_add_nc_u32_e32 v15, v15, v17
	s_delay_alu instid0(VALU_DEP_2) | instskip(NEXT) | instid1(VALU_DEP_2)
	v_mul_hi_u32 v17, v11, v16
	v_mul_lo_u32 v18, v11, v15
	v_mul_hi_u32 v19, v11, v15
	v_mul_hi_u32 v20, v12, v16
	v_mul_lo_u32 v16, v12, v16
	v_mul_hi_u32 v21, v12, v15
	v_mul_lo_u32 v15, v12, v15
	v_add_co_u32 v17, vcc_lo, v17, v18
	v_add_co_ci_u32_e32 v18, vcc_lo, 0, v19, vcc_lo
	s_delay_alu instid0(VALU_DEP_2) | instskip(NEXT) | instid1(VALU_DEP_2)
	v_add_co_u32 v16, vcc_lo, v17, v16
	v_add_co_ci_u32_e32 v16, vcc_lo, v18, v20, vcc_lo
	v_add_co_ci_u32_e32 v17, vcc_lo, 0, v21, vcc_lo
	s_delay_alu instid0(VALU_DEP_2) | instskip(NEXT) | instid1(VALU_DEP_2)
	v_add_co_u32 v15, vcc_lo, v16, v15
	v_add_co_ci_u32_e32 v16, vcc_lo, 0, v17, vcc_lo
	s_delay_alu instid0(VALU_DEP_2) | instskip(NEXT) | instid1(VALU_DEP_2)
	v_add_co_u32 v17, vcc_lo, v11, v15
	v_add_co_ci_u32_e32 v19, vcc_lo, v12, v16, vcc_lo
	s_delay_alu instid0(VALU_DEP_2) | instskip(SKIP_1) | instid1(VALU_DEP_3)
	v_mul_hi_u32 v20, v13, v17
	v_mad_u64_u32 v[15:16], null, v14, v17, 0
	v_mad_u64_u32 v[11:12], null, v13, v19, 0
	;; [unrolled: 1-line block ×3, first 2 shown]
	s_delay_alu instid0(VALU_DEP_2) | instskip(NEXT) | instid1(VALU_DEP_3)
	v_add_co_u32 v11, vcc_lo, v20, v11
	v_add_co_ci_u32_e32 v12, vcc_lo, 0, v12, vcc_lo
	s_delay_alu instid0(VALU_DEP_2) | instskip(NEXT) | instid1(VALU_DEP_2)
	v_add_co_u32 v11, vcc_lo, v11, v15
	v_add_co_ci_u32_e32 v11, vcc_lo, v12, v16, vcc_lo
	v_add_co_ci_u32_e32 v12, vcc_lo, 0, v18, vcc_lo
	s_delay_alu instid0(VALU_DEP_2) | instskip(NEXT) | instid1(VALU_DEP_2)
	v_add_co_u32 v15, vcc_lo, v11, v17
	v_add_co_ci_u32_e32 v16, vcc_lo, 0, v12, vcc_lo
	s_delay_alu instid0(VALU_DEP_2) | instskip(SKIP_1) | instid1(VALU_DEP_3)
	v_mul_lo_u32 v17, s39, v15
	v_mad_u64_u32 v[11:12], null, s38, v15, 0
	v_mul_lo_u32 v18, s38, v16
	s_delay_alu instid0(VALU_DEP_2) | instskip(NEXT) | instid1(VALU_DEP_2)
	v_sub_co_u32 v11, vcc_lo, v13, v11
	v_add3_u32 v12, v12, v18, v17
	s_delay_alu instid0(VALU_DEP_1) | instskip(NEXT) | instid1(VALU_DEP_1)
	v_sub_nc_u32_e32 v17, v14, v12
	v_subrev_co_ci_u32_e64 v13, s0, s39, v17, vcc_lo
	v_add_co_u32 v17, s0, v15, 2
	s_delay_alu instid0(VALU_DEP_1) | instskip(SKIP_3) | instid1(VALU_DEP_3)
	v_add_co_ci_u32_e64 v18, s0, 0, v16, s0
	v_sub_co_u32 v19, s0, v11, s38
	v_sub_co_ci_u32_e32 v12, vcc_lo, v14, v12, vcc_lo
	v_subrev_co_ci_u32_e64 v13, s0, 0, v13, s0
	v_cmp_le_u32_e32 vcc_lo, s38, v19
	s_delay_alu instid0(VALU_DEP_3) | instskip(SKIP_1) | instid1(VALU_DEP_4)
	v_cmp_eq_u32_e64 s0, s39, v12
	v_cndmask_b32_e64 v14, 0, -1, vcc_lo
	v_cmp_le_u32_e32 vcc_lo, s39, v13
	v_cndmask_b32_e64 v19, 0, -1, vcc_lo
	v_cmp_le_u32_e32 vcc_lo, s38, v11
	;; [unrolled: 2-line block ×3, first 2 shown]
	v_cndmask_b32_e64 v20, 0, -1, vcc_lo
	v_cmp_eq_u32_e32 vcc_lo, s39, v13
	s_delay_alu instid0(VALU_DEP_2) | instskip(SKIP_3) | instid1(VALU_DEP_3)
	v_cndmask_b32_e64 v11, v20, v11, s0
	v_cndmask_b32_e32 v13, v19, v14, vcc_lo
	v_add_co_u32 v14, vcc_lo, v15, 1
	v_add_co_ci_u32_e32 v19, vcc_lo, 0, v16, vcc_lo
	v_cmp_ne_u32_e32 vcc_lo, 0, v13
	s_delay_alu instid0(VALU_DEP_2) | instskip(SKIP_1) | instid1(VALU_DEP_2)
	v_dual_cndmask_b32 v12, v19, v18 :: v_dual_cndmask_b32 v13, v14, v17
	v_cmp_ne_u32_e32 vcc_lo, 0, v11
	v_dual_cndmask_b32 v12, v16, v12 :: v_dual_cndmask_b32 v11, v15, v13
                                        ; implicit-def: $vgpr13
.LBB43_185:
	s_and_not1_saveexec_b32 s0, s1
	s_cbranch_execz .LBB43_187
; %bb.186:
	v_cvt_f32_u32_e32 v11, s38
	s_sub_i32 s1, 0, s38
	s_delay_alu instid0(VALU_DEP_1) | instskip(SKIP_2) | instid1(VALU_DEP_1)
	v_rcp_iflag_f32_e32 v11, v11
	s_waitcnt_depctr 0xfff
	v_mul_f32_e32 v11, 0x4f7ffffe, v11
	v_cvt_u32_f32_e32 v11, v11
	s_delay_alu instid0(VALU_DEP_1) | instskip(NEXT) | instid1(VALU_DEP_1)
	v_mul_lo_u32 v12, s1, v11
	v_mul_hi_u32 v12, v11, v12
	s_delay_alu instid0(VALU_DEP_1) | instskip(NEXT) | instid1(VALU_DEP_1)
	v_add_nc_u32_e32 v11, v11, v12
	v_mul_hi_u32 v11, v13, v11
	s_delay_alu instid0(VALU_DEP_1) | instskip(NEXT) | instid1(VALU_DEP_1)
	v_mul_lo_u32 v12, v11, s38
	v_sub_nc_u32_e32 v12, v13, v12
	v_add_nc_u32_e32 v13, 1, v11
	s_delay_alu instid0(VALU_DEP_2) | instskip(SKIP_1) | instid1(VALU_DEP_2)
	v_subrev_nc_u32_e32 v14, s38, v12
	v_cmp_le_u32_e32 vcc_lo, s38, v12
	v_dual_cndmask_b32 v12, v12, v14 :: v_dual_cndmask_b32 v11, v11, v13
	s_delay_alu instid0(VALU_DEP_1) | instskip(NEXT) | instid1(VALU_DEP_2)
	v_cmp_le_u32_e32 vcc_lo, s38, v12
	v_dual_mov_b32 v12, 0 :: v_dual_add_nc_u32 v13, 1, v11
	s_delay_alu instid0(VALU_DEP_1)
	v_cndmask_b32_e32 v11, v11, v13, vcc_lo
.LBB43_187:
	s_or_b32 exec_lo, exec_lo, s0
	v_add_co_u32 v15, vcc_lo, 0x600, v31
	v_add_co_ci_u32_e32 v16, vcc_lo, 0, v32, vcc_lo
	v_mov_b32_e32 v13, 0
	s_delay_alu instid0(VALU_DEP_2) | instskip(NEXT) | instid1(VALU_DEP_1)
	v_or_b32_e32 v14, s39, v16
	v_cmp_ne_u64_e32 vcc_lo, 0, v[13:14]
                                        ; implicit-def: $vgpr13_vgpr14
	s_and_saveexec_b32 s0, vcc_lo
	s_delay_alu instid0(SALU_CYCLE_1)
	s_xor_b32 s1, exec_lo, s0
	s_cbranch_execz .LBB43_189
; %bb.188:
	v_cvt_f32_u32_e32 v13, s38
	v_cvt_f32_u32_e32 v14, s39
	s_sub_u32 s0, 0, s38
	s_subb_u32 s4, 0, s39
	s_delay_alu instid0(VALU_DEP_1) | instskip(NEXT) | instid1(VALU_DEP_1)
	v_fmamk_f32 v13, v14, 0x4f800000, v13
	v_rcp_f32_e32 v13, v13
	s_waitcnt_depctr 0xfff
	v_mul_f32_e32 v13, 0x5f7ffffc, v13
	s_delay_alu instid0(VALU_DEP_1) | instskip(NEXT) | instid1(VALU_DEP_1)
	v_mul_f32_e32 v14, 0x2f800000, v13
	v_trunc_f32_e32 v14, v14
	s_delay_alu instid0(VALU_DEP_1) | instskip(SKIP_1) | instid1(VALU_DEP_2)
	v_fmamk_f32 v13, v14, 0xcf800000, v13
	v_cvt_u32_f32_e32 v14, v14
	v_cvt_u32_f32_e32 v13, v13
	s_delay_alu instid0(VALU_DEP_2) | instskip(NEXT) | instid1(VALU_DEP_2)
	v_mul_lo_u32 v17, s0, v14
	v_mul_hi_u32 v18, s0, v13
	v_mul_lo_u32 v19, s4, v13
	s_delay_alu instid0(VALU_DEP_2) | instskip(SKIP_1) | instid1(VALU_DEP_2)
	v_add_nc_u32_e32 v17, v18, v17
	v_mul_lo_u32 v18, s0, v13
	v_add_nc_u32_e32 v17, v17, v19
	s_delay_alu instid0(VALU_DEP_2) | instskip(NEXT) | instid1(VALU_DEP_2)
	v_mul_hi_u32 v19, v13, v18
	v_mul_lo_u32 v20, v13, v17
	v_mul_hi_u32 v21, v13, v17
	v_mul_hi_u32 v22, v14, v18
	v_mul_lo_u32 v18, v14, v18
	v_mul_hi_u32 v23, v14, v17
	v_mul_lo_u32 v17, v14, v17
	v_add_co_u32 v19, vcc_lo, v19, v20
	v_add_co_ci_u32_e32 v20, vcc_lo, 0, v21, vcc_lo
	s_delay_alu instid0(VALU_DEP_2) | instskip(NEXT) | instid1(VALU_DEP_2)
	v_add_co_u32 v18, vcc_lo, v19, v18
	v_add_co_ci_u32_e32 v18, vcc_lo, v20, v22, vcc_lo
	v_add_co_ci_u32_e32 v19, vcc_lo, 0, v23, vcc_lo
	s_delay_alu instid0(VALU_DEP_2) | instskip(NEXT) | instid1(VALU_DEP_2)
	v_add_co_u32 v17, vcc_lo, v18, v17
	v_add_co_ci_u32_e32 v18, vcc_lo, 0, v19, vcc_lo
	s_delay_alu instid0(VALU_DEP_2) | instskip(NEXT) | instid1(VALU_DEP_2)
	v_add_co_u32 v13, vcc_lo, v13, v17
	v_add_co_ci_u32_e32 v14, vcc_lo, v14, v18, vcc_lo
	s_delay_alu instid0(VALU_DEP_2) | instskip(SKIP_1) | instid1(VALU_DEP_3)
	v_mul_hi_u32 v17, s0, v13
	v_mul_lo_u32 v19, s4, v13
	v_mul_lo_u32 v18, s0, v14
	s_delay_alu instid0(VALU_DEP_1) | instskip(SKIP_1) | instid1(VALU_DEP_2)
	v_add_nc_u32_e32 v17, v17, v18
	v_mul_lo_u32 v18, s0, v13
	v_add_nc_u32_e32 v17, v17, v19
	s_delay_alu instid0(VALU_DEP_2) | instskip(NEXT) | instid1(VALU_DEP_2)
	v_mul_hi_u32 v19, v13, v18
	v_mul_lo_u32 v20, v13, v17
	v_mul_hi_u32 v21, v13, v17
	v_mul_hi_u32 v22, v14, v18
	v_mul_lo_u32 v18, v14, v18
	v_mul_hi_u32 v23, v14, v17
	v_mul_lo_u32 v17, v14, v17
	v_add_co_u32 v19, vcc_lo, v19, v20
	v_add_co_ci_u32_e32 v20, vcc_lo, 0, v21, vcc_lo
	s_delay_alu instid0(VALU_DEP_2) | instskip(NEXT) | instid1(VALU_DEP_2)
	v_add_co_u32 v18, vcc_lo, v19, v18
	v_add_co_ci_u32_e32 v18, vcc_lo, v20, v22, vcc_lo
	v_add_co_ci_u32_e32 v19, vcc_lo, 0, v23, vcc_lo
	s_delay_alu instid0(VALU_DEP_2) | instskip(NEXT) | instid1(VALU_DEP_2)
	v_add_co_u32 v17, vcc_lo, v18, v17
	v_add_co_ci_u32_e32 v18, vcc_lo, 0, v19, vcc_lo
	s_delay_alu instid0(VALU_DEP_2) | instskip(NEXT) | instid1(VALU_DEP_2)
	v_add_co_u32 v19, vcc_lo, v13, v17
	v_add_co_ci_u32_e32 v21, vcc_lo, v14, v18, vcc_lo
	s_delay_alu instid0(VALU_DEP_2) | instskip(SKIP_1) | instid1(VALU_DEP_3)
	v_mul_hi_u32 v22, v15, v19
	v_mad_u64_u32 v[17:18], null, v16, v19, 0
	v_mad_u64_u32 v[13:14], null, v15, v21, 0
	;; [unrolled: 1-line block ×3, first 2 shown]
	s_delay_alu instid0(VALU_DEP_2) | instskip(NEXT) | instid1(VALU_DEP_3)
	v_add_co_u32 v13, vcc_lo, v22, v13
	v_add_co_ci_u32_e32 v14, vcc_lo, 0, v14, vcc_lo
	s_delay_alu instid0(VALU_DEP_2) | instskip(NEXT) | instid1(VALU_DEP_2)
	v_add_co_u32 v13, vcc_lo, v13, v17
	v_add_co_ci_u32_e32 v13, vcc_lo, v14, v18, vcc_lo
	v_add_co_ci_u32_e32 v14, vcc_lo, 0, v20, vcc_lo
	s_delay_alu instid0(VALU_DEP_2) | instskip(NEXT) | instid1(VALU_DEP_2)
	v_add_co_u32 v17, vcc_lo, v13, v19
	v_add_co_ci_u32_e32 v18, vcc_lo, 0, v14, vcc_lo
	s_delay_alu instid0(VALU_DEP_2) | instskip(SKIP_1) | instid1(VALU_DEP_3)
	v_mul_lo_u32 v19, s39, v17
	v_mad_u64_u32 v[13:14], null, s38, v17, 0
	v_mul_lo_u32 v20, s38, v18
	s_delay_alu instid0(VALU_DEP_2) | instskip(NEXT) | instid1(VALU_DEP_2)
	v_sub_co_u32 v13, vcc_lo, v15, v13
	v_add3_u32 v14, v14, v20, v19
	s_delay_alu instid0(VALU_DEP_1) | instskip(NEXT) | instid1(VALU_DEP_1)
	v_sub_nc_u32_e32 v19, v16, v14
	v_subrev_co_ci_u32_e64 v15, s0, s39, v19, vcc_lo
	v_add_co_u32 v19, s0, v17, 2
	s_delay_alu instid0(VALU_DEP_1) | instskip(SKIP_3) | instid1(VALU_DEP_3)
	v_add_co_ci_u32_e64 v20, s0, 0, v18, s0
	v_sub_co_u32 v21, s0, v13, s38
	v_sub_co_ci_u32_e32 v14, vcc_lo, v16, v14, vcc_lo
	v_subrev_co_ci_u32_e64 v15, s0, 0, v15, s0
	v_cmp_le_u32_e32 vcc_lo, s38, v21
	s_delay_alu instid0(VALU_DEP_3) | instskip(SKIP_1) | instid1(VALU_DEP_4)
	v_cmp_eq_u32_e64 s0, s39, v14
	v_cndmask_b32_e64 v16, 0, -1, vcc_lo
	v_cmp_le_u32_e32 vcc_lo, s39, v15
	v_cndmask_b32_e64 v21, 0, -1, vcc_lo
	v_cmp_le_u32_e32 vcc_lo, s38, v13
	;; [unrolled: 2-line block ×3, first 2 shown]
	v_cndmask_b32_e64 v22, 0, -1, vcc_lo
	v_cmp_eq_u32_e32 vcc_lo, s39, v15
	s_delay_alu instid0(VALU_DEP_2) | instskip(SKIP_3) | instid1(VALU_DEP_3)
	v_cndmask_b32_e64 v13, v22, v13, s0
	v_cndmask_b32_e32 v15, v21, v16, vcc_lo
	v_add_co_u32 v16, vcc_lo, v17, 1
	v_add_co_ci_u32_e32 v21, vcc_lo, 0, v18, vcc_lo
	v_cmp_ne_u32_e32 vcc_lo, 0, v15
	s_delay_alu instid0(VALU_DEP_2) | instskip(SKIP_1) | instid1(VALU_DEP_2)
	v_dual_cndmask_b32 v14, v21, v20 :: v_dual_cndmask_b32 v15, v16, v19
	v_cmp_ne_u32_e32 vcc_lo, 0, v13
	v_dual_cndmask_b32 v14, v18, v14 :: v_dual_cndmask_b32 v13, v17, v15
                                        ; implicit-def: $vgpr15
.LBB43_189:
	s_and_not1_saveexec_b32 s0, s1
	s_cbranch_execz .LBB43_191
; %bb.190:
	v_cvt_f32_u32_e32 v13, s38
	s_sub_i32 s1, 0, s38
	s_delay_alu instid0(VALU_DEP_1) | instskip(SKIP_2) | instid1(VALU_DEP_1)
	v_rcp_iflag_f32_e32 v13, v13
	s_waitcnt_depctr 0xfff
	v_mul_f32_e32 v13, 0x4f7ffffe, v13
	v_cvt_u32_f32_e32 v13, v13
	s_delay_alu instid0(VALU_DEP_1) | instskip(NEXT) | instid1(VALU_DEP_1)
	v_mul_lo_u32 v14, s1, v13
	v_mul_hi_u32 v14, v13, v14
	s_delay_alu instid0(VALU_DEP_1) | instskip(NEXT) | instid1(VALU_DEP_1)
	v_add_nc_u32_e32 v13, v13, v14
	v_mul_hi_u32 v13, v15, v13
	s_delay_alu instid0(VALU_DEP_1) | instskip(NEXT) | instid1(VALU_DEP_1)
	v_mul_lo_u32 v14, v13, s38
	v_sub_nc_u32_e32 v14, v15, v14
	v_add_nc_u32_e32 v15, 1, v13
	s_delay_alu instid0(VALU_DEP_2) | instskip(SKIP_1) | instid1(VALU_DEP_2)
	v_subrev_nc_u32_e32 v16, s38, v14
	v_cmp_le_u32_e32 vcc_lo, s38, v14
	v_dual_cndmask_b32 v14, v14, v16 :: v_dual_cndmask_b32 v13, v13, v15
	s_delay_alu instid0(VALU_DEP_1) | instskip(NEXT) | instid1(VALU_DEP_2)
	v_cmp_le_u32_e32 vcc_lo, s38, v14
	v_dual_mov_b32 v14, 0 :: v_dual_add_nc_u32 v15, 1, v13
	s_delay_alu instid0(VALU_DEP_1)
	v_cndmask_b32_e32 v13, v13, v15, vcc_lo
.LBB43_191:
	s_or_b32 exec_lo, exec_lo, s0
	v_add_co_u32 v17, vcc_lo, 0x700, v31
	v_add_co_ci_u32_e32 v18, vcc_lo, 0, v32, vcc_lo
	v_mov_b32_e32 v15, 0
	s_delay_alu instid0(VALU_DEP_2) | instskip(NEXT) | instid1(VALU_DEP_1)
	v_or_b32_e32 v16, s39, v18
	v_cmp_ne_u64_e32 vcc_lo, 0, v[15:16]
                                        ; implicit-def: $vgpr15_vgpr16
	s_and_saveexec_b32 s0, vcc_lo
	s_delay_alu instid0(SALU_CYCLE_1)
	s_xor_b32 s1, exec_lo, s0
	s_cbranch_execz .LBB43_193
; %bb.192:
	v_cvt_f32_u32_e32 v15, s38
	v_cvt_f32_u32_e32 v16, s39
	s_sub_u32 s0, 0, s38
	s_subb_u32 s4, 0, s39
	s_delay_alu instid0(VALU_DEP_1) | instskip(NEXT) | instid1(VALU_DEP_1)
	v_fmamk_f32 v15, v16, 0x4f800000, v15
	v_rcp_f32_e32 v15, v15
	s_waitcnt_depctr 0xfff
	v_mul_f32_e32 v15, 0x5f7ffffc, v15
	s_delay_alu instid0(VALU_DEP_1) | instskip(NEXT) | instid1(VALU_DEP_1)
	v_mul_f32_e32 v16, 0x2f800000, v15
	v_trunc_f32_e32 v16, v16
	s_delay_alu instid0(VALU_DEP_1) | instskip(SKIP_1) | instid1(VALU_DEP_2)
	v_fmamk_f32 v15, v16, 0xcf800000, v15
	v_cvt_u32_f32_e32 v16, v16
	v_cvt_u32_f32_e32 v15, v15
	s_delay_alu instid0(VALU_DEP_2) | instskip(NEXT) | instid1(VALU_DEP_2)
	v_mul_lo_u32 v19, s0, v16
	v_mul_hi_u32 v20, s0, v15
	v_mul_lo_u32 v21, s4, v15
	s_delay_alu instid0(VALU_DEP_2) | instskip(SKIP_1) | instid1(VALU_DEP_2)
	v_add_nc_u32_e32 v19, v20, v19
	v_mul_lo_u32 v20, s0, v15
	v_add_nc_u32_e32 v19, v19, v21
	s_delay_alu instid0(VALU_DEP_2) | instskip(NEXT) | instid1(VALU_DEP_2)
	v_mul_hi_u32 v21, v15, v20
	v_mul_lo_u32 v22, v15, v19
	v_mul_hi_u32 v23, v15, v19
	v_mul_hi_u32 v24, v16, v20
	v_mul_lo_u32 v20, v16, v20
	v_mul_hi_u32 v25, v16, v19
	v_mul_lo_u32 v19, v16, v19
	v_add_co_u32 v21, vcc_lo, v21, v22
	v_add_co_ci_u32_e32 v22, vcc_lo, 0, v23, vcc_lo
	s_delay_alu instid0(VALU_DEP_2) | instskip(NEXT) | instid1(VALU_DEP_2)
	v_add_co_u32 v20, vcc_lo, v21, v20
	v_add_co_ci_u32_e32 v20, vcc_lo, v22, v24, vcc_lo
	v_add_co_ci_u32_e32 v21, vcc_lo, 0, v25, vcc_lo
	s_delay_alu instid0(VALU_DEP_2) | instskip(NEXT) | instid1(VALU_DEP_2)
	v_add_co_u32 v19, vcc_lo, v20, v19
	v_add_co_ci_u32_e32 v20, vcc_lo, 0, v21, vcc_lo
	s_delay_alu instid0(VALU_DEP_2) | instskip(NEXT) | instid1(VALU_DEP_2)
	v_add_co_u32 v15, vcc_lo, v15, v19
	v_add_co_ci_u32_e32 v16, vcc_lo, v16, v20, vcc_lo
	s_delay_alu instid0(VALU_DEP_2) | instskip(SKIP_1) | instid1(VALU_DEP_3)
	v_mul_hi_u32 v19, s0, v15
	v_mul_lo_u32 v21, s4, v15
	v_mul_lo_u32 v20, s0, v16
	s_delay_alu instid0(VALU_DEP_1) | instskip(SKIP_1) | instid1(VALU_DEP_2)
	v_add_nc_u32_e32 v19, v19, v20
	v_mul_lo_u32 v20, s0, v15
	v_add_nc_u32_e32 v19, v19, v21
	s_delay_alu instid0(VALU_DEP_2) | instskip(NEXT) | instid1(VALU_DEP_2)
	v_mul_hi_u32 v21, v15, v20
	v_mul_lo_u32 v22, v15, v19
	v_mul_hi_u32 v23, v15, v19
	v_mul_hi_u32 v24, v16, v20
	v_mul_lo_u32 v20, v16, v20
	v_mul_hi_u32 v25, v16, v19
	v_mul_lo_u32 v19, v16, v19
	v_add_co_u32 v21, vcc_lo, v21, v22
	v_add_co_ci_u32_e32 v22, vcc_lo, 0, v23, vcc_lo
	s_delay_alu instid0(VALU_DEP_2) | instskip(NEXT) | instid1(VALU_DEP_2)
	v_add_co_u32 v20, vcc_lo, v21, v20
	v_add_co_ci_u32_e32 v20, vcc_lo, v22, v24, vcc_lo
	v_add_co_ci_u32_e32 v21, vcc_lo, 0, v25, vcc_lo
	s_delay_alu instid0(VALU_DEP_2) | instskip(NEXT) | instid1(VALU_DEP_2)
	v_add_co_u32 v19, vcc_lo, v20, v19
	v_add_co_ci_u32_e32 v20, vcc_lo, 0, v21, vcc_lo
	s_delay_alu instid0(VALU_DEP_2) | instskip(NEXT) | instid1(VALU_DEP_2)
	v_add_co_u32 v21, vcc_lo, v15, v19
	v_add_co_ci_u32_e32 v23, vcc_lo, v16, v20, vcc_lo
	s_delay_alu instid0(VALU_DEP_2) | instskip(SKIP_1) | instid1(VALU_DEP_3)
	v_mul_hi_u32 v24, v17, v21
	v_mad_u64_u32 v[19:20], null, v18, v21, 0
	v_mad_u64_u32 v[15:16], null, v17, v23, 0
	;; [unrolled: 1-line block ×3, first 2 shown]
	s_delay_alu instid0(VALU_DEP_2) | instskip(NEXT) | instid1(VALU_DEP_3)
	v_add_co_u32 v15, vcc_lo, v24, v15
	v_add_co_ci_u32_e32 v16, vcc_lo, 0, v16, vcc_lo
	s_delay_alu instid0(VALU_DEP_2) | instskip(NEXT) | instid1(VALU_DEP_2)
	v_add_co_u32 v15, vcc_lo, v15, v19
	v_add_co_ci_u32_e32 v15, vcc_lo, v16, v20, vcc_lo
	v_add_co_ci_u32_e32 v16, vcc_lo, 0, v22, vcc_lo
	s_delay_alu instid0(VALU_DEP_2) | instskip(NEXT) | instid1(VALU_DEP_2)
	v_add_co_u32 v19, vcc_lo, v15, v21
	v_add_co_ci_u32_e32 v20, vcc_lo, 0, v16, vcc_lo
	s_delay_alu instid0(VALU_DEP_2) | instskip(SKIP_1) | instid1(VALU_DEP_3)
	v_mul_lo_u32 v21, s39, v19
	v_mad_u64_u32 v[15:16], null, s38, v19, 0
	v_mul_lo_u32 v22, s38, v20
	s_delay_alu instid0(VALU_DEP_2) | instskip(NEXT) | instid1(VALU_DEP_2)
	v_sub_co_u32 v15, vcc_lo, v17, v15
	v_add3_u32 v16, v16, v22, v21
	s_delay_alu instid0(VALU_DEP_1) | instskip(NEXT) | instid1(VALU_DEP_1)
	v_sub_nc_u32_e32 v21, v18, v16
	v_subrev_co_ci_u32_e64 v17, s0, s39, v21, vcc_lo
	v_add_co_u32 v21, s0, v19, 2
	s_delay_alu instid0(VALU_DEP_1) | instskip(SKIP_3) | instid1(VALU_DEP_3)
	v_add_co_ci_u32_e64 v22, s0, 0, v20, s0
	v_sub_co_u32 v23, s0, v15, s38
	v_sub_co_ci_u32_e32 v16, vcc_lo, v18, v16, vcc_lo
	v_subrev_co_ci_u32_e64 v17, s0, 0, v17, s0
	v_cmp_le_u32_e32 vcc_lo, s38, v23
	s_delay_alu instid0(VALU_DEP_3) | instskip(SKIP_1) | instid1(VALU_DEP_4)
	v_cmp_eq_u32_e64 s0, s39, v16
	v_cndmask_b32_e64 v18, 0, -1, vcc_lo
	v_cmp_le_u32_e32 vcc_lo, s39, v17
	v_cndmask_b32_e64 v23, 0, -1, vcc_lo
	v_cmp_le_u32_e32 vcc_lo, s38, v15
	;; [unrolled: 2-line block ×3, first 2 shown]
	v_cndmask_b32_e64 v24, 0, -1, vcc_lo
	v_cmp_eq_u32_e32 vcc_lo, s39, v17
	s_delay_alu instid0(VALU_DEP_2) | instskip(SKIP_3) | instid1(VALU_DEP_3)
	v_cndmask_b32_e64 v15, v24, v15, s0
	v_cndmask_b32_e32 v17, v23, v18, vcc_lo
	v_add_co_u32 v18, vcc_lo, v19, 1
	v_add_co_ci_u32_e32 v23, vcc_lo, 0, v20, vcc_lo
	v_cmp_ne_u32_e32 vcc_lo, 0, v17
	s_delay_alu instid0(VALU_DEP_2) | instskip(SKIP_1) | instid1(VALU_DEP_2)
	v_dual_cndmask_b32 v16, v23, v22 :: v_dual_cndmask_b32 v17, v18, v21
	v_cmp_ne_u32_e32 vcc_lo, 0, v15
	v_dual_cndmask_b32 v16, v20, v16 :: v_dual_cndmask_b32 v15, v19, v17
                                        ; implicit-def: $vgpr17
.LBB43_193:
	s_and_not1_saveexec_b32 s0, s1
	s_cbranch_execz .LBB43_195
; %bb.194:
	v_cvt_f32_u32_e32 v15, s38
	s_sub_i32 s1, 0, s38
	s_delay_alu instid0(VALU_DEP_1) | instskip(SKIP_2) | instid1(VALU_DEP_1)
	v_rcp_iflag_f32_e32 v15, v15
	s_waitcnt_depctr 0xfff
	v_mul_f32_e32 v15, 0x4f7ffffe, v15
	v_cvt_u32_f32_e32 v15, v15
	s_delay_alu instid0(VALU_DEP_1) | instskip(NEXT) | instid1(VALU_DEP_1)
	v_mul_lo_u32 v16, s1, v15
	v_mul_hi_u32 v16, v15, v16
	s_delay_alu instid0(VALU_DEP_1) | instskip(NEXT) | instid1(VALU_DEP_1)
	v_add_nc_u32_e32 v15, v15, v16
	v_mul_hi_u32 v15, v17, v15
	s_delay_alu instid0(VALU_DEP_1) | instskip(NEXT) | instid1(VALU_DEP_1)
	v_mul_lo_u32 v16, v15, s38
	v_sub_nc_u32_e32 v16, v17, v16
	v_add_nc_u32_e32 v17, 1, v15
	s_delay_alu instid0(VALU_DEP_2) | instskip(SKIP_1) | instid1(VALU_DEP_2)
	v_subrev_nc_u32_e32 v18, s38, v16
	v_cmp_le_u32_e32 vcc_lo, s38, v16
	v_dual_cndmask_b32 v16, v16, v18 :: v_dual_cndmask_b32 v15, v15, v17
	s_delay_alu instid0(VALU_DEP_1) | instskip(NEXT) | instid1(VALU_DEP_2)
	v_cmp_le_u32_e32 vcc_lo, s38, v16
	v_dual_mov_b32 v16, 0 :: v_dual_add_nc_u32 v17, 1, v15
	s_delay_alu instid0(VALU_DEP_1)
	v_cndmask_b32_e32 v15, v15, v17, vcc_lo
.LBB43_195:
	s_or_b32 exec_lo, exec_lo, s0
	v_add_co_u32 v19, vcc_lo, 0x800, v31
	v_add_co_ci_u32_e32 v20, vcc_lo, 0, v32, vcc_lo
	v_mov_b32_e32 v17, 0
	s_delay_alu instid0(VALU_DEP_2) | instskip(NEXT) | instid1(VALU_DEP_1)
	v_or_b32_e32 v18, s39, v20
	v_cmp_ne_u64_e32 vcc_lo, 0, v[17:18]
                                        ; implicit-def: $vgpr17_vgpr18
	s_and_saveexec_b32 s0, vcc_lo
	s_delay_alu instid0(SALU_CYCLE_1)
	s_xor_b32 s1, exec_lo, s0
	s_cbranch_execz .LBB43_197
; %bb.196:
	v_cvt_f32_u32_e32 v17, s38
	v_cvt_f32_u32_e32 v18, s39
	s_sub_u32 s0, 0, s38
	s_subb_u32 s4, 0, s39
	s_delay_alu instid0(VALU_DEP_1) | instskip(NEXT) | instid1(VALU_DEP_1)
	v_fmamk_f32 v17, v18, 0x4f800000, v17
	v_rcp_f32_e32 v17, v17
	s_waitcnt_depctr 0xfff
	v_mul_f32_e32 v17, 0x5f7ffffc, v17
	s_delay_alu instid0(VALU_DEP_1) | instskip(NEXT) | instid1(VALU_DEP_1)
	v_mul_f32_e32 v18, 0x2f800000, v17
	v_trunc_f32_e32 v18, v18
	s_delay_alu instid0(VALU_DEP_1) | instskip(SKIP_1) | instid1(VALU_DEP_2)
	v_fmamk_f32 v17, v18, 0xcf800000, v17
	v_cvt_u32_f32_e32 v18, v18
	v_cvt_u32_f32_e32 v17, v17
	s_delay_alu instid0(VALU_DEP_2) | instskip(NEXT) | instid1(VALU_DEP_2)
	v_mul_lo_u32 v21, s0, v18
	v_mul_hi_u32 v22, s0, v17
	v_mul_lo_u32 v23, s4, v17
	s_delay_alu instid0(VALU_DEP_2) | instskip(SKIP_1) | instid1(VALU_DEP_2)
	v_add_nc_u32_e32 v21, v22, v21
	v_mul_lo_u32 v22, s0, v17
	v_add_nc_u32_e32 v21, v21, v23
	s_delay_alu instid0(VALU_DEP_2) | instskip(NEXT) | instid1(VALU_DEP_2)
	v_mul_hi_u32 v23, v17, v22
	v_mul_lo_u32 v24, v17, v21
	v_mul_hi_u32 v25, v17, v21
	v_mul_hi_u32 v26, v18, v22
	v_mul_lo_u32 v22, v18, v22
	v_mul_hi_u32 v27, v18, v21
	v_mul_lo_u32 v21, v18, v21
	v_add_co_u32 v23, vcc_lo, v23, v24
	v_add_co_ci_u32_e32 v24, vcc_lo, 0, v25, vcc_lo
	s_delay_alu instid0(VALU_DEP_2) | instskip(NEXT) | instid1(VALU_DEP_2)
	v_add_co_u32 v22, vcc_lo, v23, v22
	v_add_co_ci_u32_e32 v22, vcc_lo, v24, v26, vcc_lo
	v_add_co_ci_u32_e32 v23, vcc_lo, 0, v27, vcc_lo
	s_delay_alu instid0(VALU_DEP_2) | instskip(NEXT) | instid1(VALU_DEP_2)
	v_add_co_u32 v21, vcc_lo, v22, v21
	v_add_co_ci_u32_e32 v22, vcc_lo, 0, v23, vcc_lo
	s_delay_alu instid0(VALU_DEP_2) | instskip(NEXT) | instid1(VALU_DEP_2)
	v_add_co_u32 v17, vcc_lo, v17, v21
	v_add_co_ci_u32_e32 v18, vcc_lo, v18, v22, vcc_lo
	s_delay_alu instid0(VALU_DEP_2) | instskip(SKIP_1) | instid1(VALU_DEP_3)
	v_mul_hi_u32 v21, s0, v17
	v_mul_lo_u32 v23, s4, v17
	v_mul_lo_u32 v22, s0, v18
	s_delay_alu instid0(VALU_DEP_1) | instskip(SKIP_1) | instid1(VALU_DEP_2)
	v_add_nc_u32_e32 v21, v21, v22
	v_mul_lo_u32 v22, s0, v17
	v_add_nc_u32_e32 v21, v21, v23
	s_delay_alu instid0(VALU_DEP_2) | instskip(NEXT) | instid1(VALU_DEP_2)
	v_mul_hi_u32 v23, v17, v22
	v_mul_lo_u32 v24, v17, v21
	v_mul_hi_u32 v25, v17, v21
	v_mul_hi_u32 v26, v18, v22
	v_mul_lo_u32 v22, v18, v22
	v_mul_hi_u32 v27, v18, v21
	v_mul_lo_u32 v21, v18, v21
	v_add_co_u32 v23, vcc_lo, v23, v24
	v_add_co_ci_u32_e32 v24, vcc_lo, 0, v25, vcc_lo
	s_delay_alu instid0(VALU_DEP_2) | instskip(NEXT) | instid1(VALU_DEP_2)
	v_add_co_u32 v22, vcc_lo, v23, v22
	v_add_co_ci_u32_e32 v22, vcc_lo, v24, v26, vcc_lo
	v_add_co_ci_u32_e32 v23, vcc_lo, 0, v27, vcc_lo
	s_delay_alu instid0(VALU_DEP_2) | instskip(NEXT) | instid1(VALU_DEP_2)
	v_add_co_u32 v21, vcc_lo, v22, v21
	v_add_co_ci_u32_e32 v22, vcc_lo, 0, v23, vcc_lo
	s_delay_alu instid0(VALU_DEP_2) | instskip(NEXT) | instid1(VALU_DEP_2)
	v_add_co_u32 v23, vcc_lo, v17, v21
	v_add_co_ci_u32_e32 v25, vcc_lo, v18, v22, vcc_lo
	s_delay_alu instid0(VALU_DEP_2) | instskip(SKIP_1) | instid1(VALU_DEP_3)
	v_mul_hi_u32 v26, v19, v23
	v_mad_u64_u32 v[21:22], null, v20, v23, 0
	v_mad_u64_u32 v[17:18], null, v19, v25, 0
	;; [unrolled: 1-line block ×3, first 2 shown]
	s_delay_alu instid0(VALU_DEP_2) | instskip(NEXT) | instid1(VALU_DEP_3)
	v_add_co_u32 v17, vcc_lo, v26, v17
	v_add_co_ci_u32_e32 v18, vcc_lo, 0, v18, vcc_lo
	s_delay_alu instid0(VALU_DEP_2) | instskip(NEXT) | instid1(VALU_DEP_2)
	v_add_co_u32 v17, vcc_lo, v17, v21
	v_add_co_ci_u32_e32 v17, vcc_lo, v18, v22, vcc_lo
	v_add_co_ci_u32_e32 v18, vcc_lo, 0, v24, vcc_lo
	s_delay_alu instid0(VALU_DEP_2) | instskip(NEXT) | instid1(VALU_DEP_2)
	v_add_co_u32 v21, vcc_lo, v17, v23
	v_add_co_ci_u32_e32 v22, vcc_lo, 0, v18, vcc_lo
	s_delay_alu instid0(VALU_DEP_2) | instskip(SKIP_1) | instid1(VALU_DEP_3)
	v_mul_lo_u32 v23, s39, v21
	v_mad_u64_u32 v[17:18], null, s38, v21, 0
	v_mul_lo_u32 v24, s38, v22
	s_delay_alu instid0(VALU_DEP_2) | instskip(NEXT) | instid1(VALU_DEP_2)
	v_sub_co_u32 v17, vcc_lo, v19, v17
	v_add3_u32 v18, v18, v24, v23
	s_delay_alu instid0(VALU_DEP_1) | instskip(NEXT) | instid1(VALU_DEP_1)
	v_sub_nc_u32_e32 v23, v20, v18
	v_subrev_co_ci_u32_e64 v19, s0, s39, v23, vcc_lo
	v_add_co_u32 v23, s0, v21, 2
	s_delay_alu instid0(VALU_DEP_1) | instskip(SKIP_3) | instid1(VALU_DEP_3)
	v_add_co_ci_u32_e64 v24, s0, 0, v22, s0
	v_sub_co_u32 v25, s0, v17, s38
	v_sub_co_ci_u32_e32 v18, vcc_lo, v20, v18, vcc_lo
	v_subrev_co_ci_u32_e64 v19, s0, 0, v19, s0
	v_cmp_le_u32_e32 vcc_lo, s38, v25
	s_delay_alu instid0(VALU_DEP_3) | instskip(SKIP_1) | instid1(VALU_DEP_4)
	v_cmp_eq_u32_e64 s0, s39, v18
	v_cndmask_b32_e64 v20, 0, -1, vcc_lo
	v_cmp_le_u32_e32 vcc_lo, s39, v19
	v_cndmask_b32_e64 v25, 0, -1, vcc_lo
	v_cmp_le_u32_e32 vcc_lo, s38, v17
	;; [unrolled: 2-line block ×3, first 2 shown]
	v_cndmask_b32_e64 v26, 0, -1, vcc_lo
	v_cmp_eq_u32_e32 vcc_lo, s39, v19
	s_delay_alu instid0(VALU_DEP_2) | instskip(SKIP_3) | instid1(VALU_DEP_3)
	v_cndmask_b32_e64 v17, v26, v17, s0
	v_cndmask_b32_e32 v19, v25, v20, vcc_lo
	v_add_co_u32 v20, vcc_lo, v21, 1
	v_add_co_ci_u32_e32 v25, vcc_lo, 0, v22, vcc_lo
	v_cmp_ne_u32_e32 vcc_lo, 0, v19
	s_delay_alu instid0(VALU_DEP_2) | instskip(SKIP_1) | instid1(VALU_DEP_2)
	v_dual_cndmask_b32 v18, v25, v24 :: v_dual_cndmask_b32 v19, v20, v23
	v_cmp_ne_u32_e32 vcc_lo, 0, v17
	v_dual_cndmask_b32 v18, v22, v18 :: v_dual_cndmask_b32 v17, v21, v19
                                        ; implicit-def: $vgpr19
.LBB43_197:
	s_and_not1_saveexec_b32 s0, s1
	s_cbranch_execz .LBB43_199
; %bb.198:
	v_cvt_f32_u32_e32 v17, s38
	s_sub_i32 s1, 0, s38
	s_delay_alu instid0(VALU_DEP_1) | instskip(SKIP_2) | instid1(VALU_DEP_1)
	v_rcp_iflag_f32_e32 v17, v17
	s_waitcnt_depctr 0xfff
	v_mul_f32_e32 v17, 0x4f7ffffe, v17
	v_cvt_u32_f32_e32 v17, v17
	s_delay_alu instid0(VALU_DEP_1) | instskip(NEXT) | instid1(VALU_DEP_1)
	v_mul_lo_u32 v18, s1, v17
	v_mul_hi_u32 v18, v17, v18
	s_delay_alu instid0(VALU_DEP_1) | instskip(NEXT) | instid1(VALU_DEP_1)
	v_add_nc_u32_e32 v17, v17, v18
	v_mul_hi_u32 v17, v19, v17
	s_delay_alu instid0(VALU_DEP_1) | instskip(NEXT) | instid1(VALU_DEP_1)
	v_mul_lo_u32 v18, v17, s38
	v_sub_nc_u32_e32 v18, v19, v18
	v_add_nc_u32_e32 v19, 1, v17
	s_delay_alu instid0(VALU_DEP_2) | instskip(SKIP_1) | instid1(VALU_DEP_2)
	v_subrev_nc_u32_e32 v20, s38, v18
	v_cmp_le_u32_e32 vcc_lo, s38, v18
	v_dual_cndmask_b32 v18, v18, v20 :: v_dual_cndmask_b32 v17, v17, v19
	s_delay_alu instid0(VALU_DEP_1) | instskip(NEXT) | instid1(VALU_DEP_2)
	v_cmp_le_u32_e32 vcc_lo, s38, v18
	v_dual_mov_b32 v18, 0 :: v_dual_add_nc_u32 v19, 1, v17
	s_delay_alu instid0(VALU_DEP_1)
	v_cndmask_b32_e32 v17, v17, v19, vcc_lo
.LBB43_199:
	s_or_b32 exec_lo, exec_lo, s0
	v_add_co_u32 v21, vcc_lo, 0x900, v31
	v_add_co_ci_u32_e32 v22, vcc_lo, 0, v32, vcc_lo
	v_mov_b32_e32 v19, 0
	s_delay_alu instid0(VALU_DEP_2) | instskip(NEXT) | instid1(VALU_DEP_1)
	v_or_b32_e32 v20, s39, v22
	v_cmp_ne_u64_e32 vcc_lo, 0, v[19:20]
                                        ; implicit-def: $vgpr19_vgpr20
	s_and_saveexec_b32 s0, vcc_lo
	s_delay_alu instid0(SALU_CYCLE_1)
	s_xor_b32 s1, exec_lo, s0
	s_cbranch_execz .LBB43_201
; %bb.200:
	v_cvt_f32_u32_e32 v19, s38
	v_cvt_f32_u32_e32 v20, s39
	s_sub_u32 s0, 0, s38
	s_subb_u32 s4, 0, s39
	s_delay_alu instid0(VALU_DEP_1) | instskip(NEXT) | instid1(VALU_DEP_1)
	v_fmamk_f32 v19, v20, 0x4f800000, v19
	v_rcp_f32_e32 v19, v19
	s_waitcnt_depctr 0xfff
	v_mul_f32_e32 v19, 0x5f7ffffc, v19
	s_delay_alu instid0(VALU_DEP_1) | instskip(NEXT) | instid1(VALU_DEP_1)
	v_mul_f32_e32 v20, 0x2f800000, v19
	v_trunc_f32_e32 v20, v20
	s_delay_alu instid0(VALU_DEP_1) | instskip(SKIP_1) | instid1(VALU_DEP_2)
	v_fmamk_f32 v19, v20, 0xcf800000, v19
	v_cvt_u32_f32_e32 v20, v20
	v_cvt_u32_f32_e32 v19, v19
	s_delay_alu instid0(VALU_DEP_2) | instskip(NEXT) | instid1(VALU_DEP_2)
	v_mul_lo_u32 v23, s0, v20
	v_mul_hi_u32 v24, s0, v19
	v_mul_lo_u32 v25, s4, v19
	s_delay_alu instid0(VALU_DEP_2) | instskip(SKIP_1) | instid1(VALU_DEP_2)
	v_add_nc_u32_e32 v23, v24, v23
	v_mul_lo_u32 v24, s0, v19
	v_add_nc_u32_e32 v23, v23, v25
	s_delay_alu instid0(VALU_DEP_2) | instskip(NEXT) | instid1(VALU_DEP_2)
	v_mul_hi_u32 v25, v19, v24
	v_mul_lo_u32 v26, v19, v23
	v_mul_hi_u32 v27, v19, v23
	v_mul_hi_u32 v28, v20, v24
	v_mul_lo_u32 v24, v20, v24
	v_mul_hi_u32 v29, v20, v23
	v_mul_lo_u32 v23, v20, v23
	v_add_co_u32 v25, vcc_lo, v25, v26
	v_add_co_ci_u32_e32 v26, vcc_lo, 0, v27, vcc_lo
	s_delay_alu instid0(VALU_DEP_2) | instskip(NEXT) | instid1(VALU_DEP_2)
	v_add_co_u32 v24, vcc_lo, v25, v24
	v_add_co_ci_u32_e32 v24, vcc_lo, v26, v28, vcc_lo
	v_add_co_ci_u32_e32 v25, vcc_lo, 0, v29, vcc_lo
	s_delay_alu instid0(VALU_DEP_2) | instskip(NEXT) | instid1(VALU_DEP_2)
	v_add_co_u32 v23, vcc_lo, v24, v23
	v_add_co_ci_u32_e32 v24, vcc_lo, 0, v25, vcc_lo
	s_delay_alu instid0(VALU_DEP_2) | instskip(NEXT) | instid1(VALU_DEP_2)
	v_add_co_u32 v19, vcc_lo, v19, v23
	v_add_co_ci_u32_e32 v20, vcc_lo, v20, v24, vcc_lo
	s_delay_alu instid0(VALU_DEP_2) | instskip(SKIP_1) | instid1(VALU_DEP_3)
	v_mul_hi_u32 v23, s0, v19
	v_mul_lo_u32 v25, s4, v19
	v_mul_lo_u32 v24, s0, v20
	s_delay_alu instid0(VALU_DEP_1) | instskip(SKIP_1) | instid1(VALU_DEP_2)
	v_add_nc_u32_e32 v23, v23, v24
	v_mul_lo_u32 v24, s0, v19
	v_add_nc_u32_e32 v23, v23, v25
	s_delay_alu instid0(VALU_DEP_2) | instskip(NEXT) | instid1(VALU_DEP_2)
	v_mul_hi_u32 v25, v19, v24
	v_mul_lo_u32 v26, v19, v23
	v_mul_hi_u32 v27, v19, v23
	v_mul_hi_u32 v28, v20, v24
	v_mul_lo_u32 v24, v20, v24
	v_mul_hi_u32 v29, v20, v23
	v_mul_lo_u32 v23, v20, v23
	v_add_co_u32 v25, vcc_lo, v25, v26
	v_add_co_ci_u32_e32 v26, vcc_lo, 0, v27, vcc_lo
	s_delay_alu instid0(VALU_DEP_2) | instskip(NEXT) | instid1(VALU_DEP_2)
	v_add_co_u32 v24, vcc_lo, v25, v24
	v_add_co_ci_u32_e32 v24, vcc_lo, v26, v28, vcc_lo
	v_add_co_ci_u32_e32 v25, vcc_lo, 0, v29, vcc_lo
	s_delay_alu instid0(VALU_DEP_2) | instskip(NEXT) | instid1(VALU_DEP_2)
	v_add_co_u32 v23, vcc_lo, v24, v23
	v_add_co_ci_u32_e32 v24, vcc_lo, 0, v25, vcc_lo
	s_delay_alu instid0(VALU_DEP_2) | instskip(NEXT) | instid1(VALU_DEP_2)
	v_add_co_u32 v25, vcc_lo, v19, v23
	v_add_co_ci_u32_e32 v27, vcc_lo, v20, v24, vcc_lo
	s_delay_alu instid0(VALU_DEP_2) | instskip(SKIP_1) | instid1(VALU_DEP_3)
	v_mul_hi_u32 v28, v21, v25
	v_mad_u64_u32 v[23:24], null, v22, v25, 0
	v_mad_u64_u32 v[19:20], null, v21, v27, 0
	v_mad_u64_u32 v[25:26], null, v22, v27, 0
	s_delay_alu instid0(VALU_DEP_2) | instskip(NEXT) | instid1(VALU_DEP_3)
	v_add_co_u32 v19, vcc_lo, v28, v19
	v_add_co_ci_u32_e32 v20, vcc_lo, 0, v20, vcc_lo
	s_delay_alu instid0(VALU_DEP_2) | instskip(NEXT) | instid1(VALU_DEP_2)
	v_add_co_u32 v19, vcc_lo, v19, v23
	v_add_co_ci_u32_e32 v19, vcc_lo, v20, v24, vcc_lo
	v_add_co_ci_u32_e32 v20, vcc_lo, 0, v26, vcc_lo
	s_delay_alu instid0(VALU_DEP_2) | instskip(NEXT) | instid1(VALU_DEP_2)
	v_add_co_u32 v23, vcc_lo, v19, v25
	v_add_co_ci_u32_e32 v24, vcc_lo, 0, v20, vcc_lo
	s_delay_alu instid0(VALU_DEP_2) | instskip(SKIP_1) | instid1(VALU_DEP_3)
	v_mul_lo_u32 v25, s39, v23
	v_mad_u64_u32 v[19:20], null, s38, v23, 0
	v_mul_lo_u32 v26, s38, v24
	s_delay_alu instid0(VALU_DEP_2) | instskip(NEXT) | instid1(VALU_DEP_2)
	v_sub_co_u32 v19, vcc_lo, v21, v19
	v_add3_u32 v20, v20, v26, v25
	s_delay_alu instid0(VALU_DEP_1) | instskip(NEXT) | instid1(VALU_DEP_1)
	v_sub_nc_u32_e32 v25, v22, v20
	v_subrev_co_ci_u32_e64 v21, s0, s39, v25, vcc_lo
	v_add_co_u32 v25, s0, v23, 2
	s_delay_alu instid0(VALU_DEP_1) | instskip(SKIP_3) | instid1(VALU_DEP_3)
	v_add_co_ci_u32_e64 v26, s0, 0, v24, s0
	v_sub_co_u32 v27, s0, v19, s38
	v_sub_co_ci_u32_e32 v20, vcc_lo, v22, v20, vcc_lo
	v_subrev_co_ci_u32_e64 v21, s0, 0, v21, s0
	v_cmp_le_u32_e32 vcc_lo, s38, v27
	s_delay_alu instid0(VALU_DEP_3) | instskip(SKIP_1) | instid1(VALU_DEP_4)
	v_cmp_eq_u32_e64 s0, s39, v20
	v_cndmask_b32_e64 v22, 0, -1, vcc_lo
	v_cmp_le_u32_e32 vcc_lo, s39, v21
	v_cndmask_b32_e64 v27, 0, -1, vcc_lo
	v_cmp_le_u32_e32 vcc_lo, s38, v19
	;; [unrolled: 2-line block ×3, first 2 shown]
	v_cndmask_b32_e64 v28, 0, -1, vcc_lo
	v_cmp_eq_u32_e32 vcc_lo, s39, v21
	s_delay_alu instid0(VALU_DEP_2) | instskip(SKIP_3) | instid1(VALU_DEP_3)
	v_cndmask_b32_e64 v19, v28, v19, s0
	v_cndmask_b32_e32 v21, v27, v22, vcc_lo
	v_add_co_u32 v22, vcc_lo, v23, 1
	v_add_co_ci_u32_e32 v27, vcc_lo, 0, v24, vcc_lo
	v_cmp_ne_u32_e32 vcc_lo, 0, v21
	s_delay_alu instid0(VALU_DEP_2) | instskip(SKIP_1) | instid1(VALU_DEP_2)
	v_dual_cndmask_b32 v20, v27, v26 :: v_dual_cndmask_b32 v21, v22, v25
	v_cmp_ne_u32_e32 vcc_lo, 0, v19
	v_dual_cndmask_b32 v20, v24, v20 :: v_dual_cndmask_b32 v19, v23, v21
                                        ; implicit-def: $vgpr21
.LBB43_201:
	s_and_not1_saveexec_b32 s0, s1
	s_cbranch_execz .LBB43_203
; %bb.202:
	v_cvt_f32_u32_e32 v19, s38
	s_sub_i32 s1, 0, s38
	s_delay_alu instid0(VALU_DEP_1) | instskip(SKIP_2) | instid1(VALU_DEP_1)
	v_rcp_iflag_f32_e32 v19, v19
	s_waitcnt_depctr 0xfff
	v_mul_f32_e32 v19, 0x4f7ffffe, v19
	v_cvt_u32_f32_e32 v19, v19
	s_delay_alu instid0(VALU_DEP_1) | instskip(NEXT) | instid1(VALU_DEP_1)
	v_mul_lo_u32 v20, s1, v19
	v_mul_hi_u32 v20, v19, v20
	s_delay_alu instid0(VALU_DEP_1) | instskip(NEXT) | instid1(VALU_DEP_1)
	v_add_nc_u32_e32 v19, v19, v20
	v_mul_hi_u32 v19, v21, v19
	s_delay_alu instid0(VALU_DEP_1) | instskip(NEXT) | instid1(VALU_DEP_1)
	v_mul_lo_u32 v20, v19, s38
	v_sub_nc_u32_e32 v20, v21, v20
	v_add_nc_u32_e32 v21, 1, v19
	s_delay_alu instid0(VALU_DEP_2) | instskip(SKIP_1) | instid1(VALU_DEP_2)
	v_subrev_nc_u32_e32 v22, s38, v20
	v_cmp_le_u32_e32 vcc_lo, s38, v20
	v_dual_cndmask_b32 v20, v20, v22 :: v_dual_cndmask_b32 v19, v19, v21
	s_delay_alu instid0(VALU_DEP_1) | instskip(NEXT) | instid1(VALU_DEP_2)
	v_cmp_le_u32_e32 vcc_lo, s38, v20
	v_dual_mov_b32 v20, 0 :: v_dual_add_nc_u32 v21, 1, v19
	s_delay_alu instid0(VALU_DEP_1)
	v_cndmask_b32_e32 v19, v19, v21, vcc_lo
.LBB43_203:
	s_or_b32 exec_lo, exec_lo, s0
	v_add_co_u32 v23, vcc_lo, 0xa00, v31
	v_add_co_ci_u32_e32 v24, vcc_lo, 0, v32, vcc_lo
	v_mov_b32_e32 v21, 0
	s_delay_alu instid0(VALU_DEP_2) | instskip(NEXT) | instid1(VALU_DEP_1)
	v_or_b32_e32 v22, s39, v24
	v_cmp_ne_u64_e32 vcc_lo, 0, v[21:22]
                                        ; implicit-def: $vgpr21_vgpr22
	s_and_saveexec_b32 s0, vcc_lo
	s_delay_alu instid0(SALU_CYCLE_1)
	s_xor_b32 s1, exec_lo, s0
	s_cbranch_execz .LBB43_205
; %bb.204:
	v_cvt_f32_u32_e32 v21, s38
	v_cvt_f32_u32_e32 v22, s39
	s_sub_u32 s0, 0, s38
	s_subb_u32 s4, 0, s39
	s_delay_alu instid0(VALU_DEP_1) | instskip(NEXT) | instid1(VALU_DEP_1)
	v_fmamk_f32 v21, v22, 0x4f800000, v21
	v_rcp_f32_e32 v21, v21
	s_waitcnt_depctr 0xfff
	v_mul_f32_e32 v21, 0x5f7ffffc, v21
	s_delay_alu instid0(VALU_DEP_1) | instskip(NEXT) | instid1(VALU_DEP_1)
	v_mul_f32_e32 v22, 0x2f800000, v21
	v_trunc_f32_e32 v22, v22
	s_delay_alu instid0(VALU_DEP_1) | instskip(SKIP_1) | instid1(VALU_DEP_2)
	v_fmamk_f32 v21, v22, 0xcf800000, v21
	v_cvt_u32_f32_e32 v22, v22
	v_cvt_u32_f32_e32 v21, v21
	s_delay_alu instid0(VALU_DEP_2) | instskip(NEXT) | instid1(VALU_DEP_2)
	v_mul_lo_u32 v25, s0, v22
	v_mul_hi_u32 v26, s0, v21
	v_mul_lo_u32 v27, s4, v21
	s_delay_alu instid0(VALU_DEP_2) | instskip(SKIP_1) | instid1(VALU_DEP_2)
	v_add_nc_u32_e32 v25, v26, v25
	v_mul_lo_u32 v26, s0, v21
	v_add_nc_u32_e32 v25, v25, v27
	s_delay_alu instid0(VALU_DEP_2) | instskip(NEXT) | instid1(VALU_DEP_2)
	v_mul_hi_u32 v27, v21, v26
	v_mul_lo_u32 v28, v21, v25
	v_mul_hi_u32 v29, v21, v25
	v_mul_hi_u32 v30, v22, v26
	v_mul_lo_u32 v26, v22, v26
	v_mul_hi_u32 v33, v22, v25
	v_mul_lo_u32 v25, v22, v25
	v_add_co_u32 v27, vcc_lo, v27, v28
	v_add_co_ci_u32_e32 v28, vcc_lo, 0, v29, vcc_lo
	s_delay_alu instid0(VALU_DEP_2) | instskip(NEXT) | instid1(VALU_DEP_2)
	v_add_co_u32 v26, vcc_lo, v27, v26
	v_add_co_ci_u32_e32 v26, vcc_lo, v28, v30, vcc_lo
	v_add_co_ci_u32_e32 v27, vcc_lo, 0, v33, vcc_lo
	s_delay_alu instid0(VALU_DEP_2) | instskip(NEXT) | instid1(VALU_DEP_2)
	v_add_co_u32 v25, vcc_lo, v26, v25
	v_add_co_ci_u32_e32 v26, vcc_lo, 0, v27, vcc_lo
	s_delay_alu instid0(VALU_DEP_2) | instskip(NEXT) | instid1(VALU_DEP_2)
	v_add_co_u32 v21, vcc_lo, v21, v25
	v_add_co_ci_u32_e32 v22, vcc_lo, v22, v26, vcc_lo
	s_delay_alu instid0(VALU_DEP_2) | instskip(SKIP_1) | instid1(VALU_DEP_3)
	v_mul_hi_u32 v25, s0, v21
	v_mul_lo_u32 v27, s4, v21
	v_mul_lo_u32 v26, s0, v22
	s_delay_alu instid0(VALU_DEP_1) | instskip(SKIP_1) | instid1(VALU_DEP_2)
	v_add_nc_u32_e32 v25, v25, v26
	v_mul_lo_u32 v26, s0, v21
	v_add_nc_u32_e32 v25, v25, v27
	s_delay_alu instid0(VALU_DEP_2) | instskip(NEXT) | instid1(VALU_DEP_2)
	v_mul_hi_u32 v27, v21, v26
	v_mul_lo_u32 v28, v21, v25
	v_mul_hi_u32 v29, v21, v25
	v_mul_hi_u32 v30, v22, v26
	v_mul_lo_u32 v26, v22, v26
	v_mul_hi_u32 v33, v22, v25
	v_mul_lo_u32 v25, v22, v25
	v_add_co_u32 v27, vcc_lo, v27, v28
	v_add_co_ci_u32_e32 v28, vcc_lo, 0, v29, vcc_lo
	s_delay_alu instid0(VALU_DEP_2) | instskip(NEXT) | instid1(VALU_DEP_2)
	v_add_co_u32 v26, vcc_lo, v27, v26
	v_add_co_ci_u32_e32 v26, vcc_lo, v28, v30, vcc_lo
	v_add_co_ci_u32_e32 v27, vcc_lo, 0, v33, vcc_lo
	s_delay_alu instid0(VALU_DEP_2) | instskip(NEXT) | instid1(VALU_DEP_2)
	v_add_co_u32 v25, vcc_lo, v26, v25
	v_add_co_ci_u32_e32 v26, vcc_lo, 0, v27, vcc_lo
	s_delay_alu instid0(VALU_DEP_2) | instskip(NEXT) | instid1(VALU_DEP_2)
	v_add_co_u32 v27, vcc_lo, v21, v25
	v_add_co_ci_u32_e32 v29, vcc_lo, v22, v26, vcc_lo
	s_delay_alu instid0(VALU_DEP_2) | instskip(SKIP_1) | instid1(VALU_DEP_3)
	v_mul_hi_u32 v30, v23, v27
	v_mad_u64_u32 v[25:26], null, v24, v27, 0
	v_mad_u64_u32 v[21:22], null, v23, v29, 0
	;; [unrolled: 1-line block ×3, first 2 shown]
	s_delay_alu instid0(VALU_DEP_2) | instskip(NEXT) | instid1(VALU_DEP_3)
	v_add_co_u32 v21, vcc_lo, v30, v21
	v_add_co_ci_u32_e32 v22, vcc_lo, 0, v22, vcc_lo
	s_delay_alu instid0(VALU_DEP_2) | instskip(NEXT) | instid1(VALU_DEP_2)
	v_add_co_u32 v21, vcc_lo, v21, v25
	v_add_co_ci_u32_e32 v21, vcc_lo, v22, v26, vcc_lo
	v_add_co_ci_u32_e32 v22, vcc_lo, 0, v28, vcc_lo
	s_delay_alu instid0(VALU_DEP_2) | instskip(NEXT) | instid1(VALU_DEP_2)
	v_add_co_u32 v25, vcc_lo, v21, v27
	v_add_co_ci_u32_e32 v26, vcc_lo, 0, v22, vcc_lo
	s_delay_alu instid0(VALU_DEP_2) | instskip(SKIP_1) | instid1(VALU_DEP_3)
	v_mul_lo_u32 v27, s39, v25
	v_mad_u64_u32 v[21:22], null, s38, v25, 0
	v_mul_lo_u32 v28, s38, v26
	s_delay_alu instid0(VALU_DEP_2) | instskip(NEXT) | instid1(VALU_DEP_2)
	v_sub_co_u32 v21, vcc_lo, v23, v21
	v_add3_u32 v22, v22, v28, v27
	s_delay_alu instid0(VALU_DEP_1) | instskip(NEXT) | instid1(VALU_DEP_1)
	v_sub_nc_u32_e32 v27, v24, v22
	v_subrev_co_ci_u32_e64 v23, s0, s39, v27, vcc_lo
	v_add_co_u32 v27, s0, v25, 2
	s_delay_alu instid0(VALU_DEP_1) | instskip(SKIP_3) | instid1(VALU_DEP_3)
	v_add_co_ci_u32_e64 v28, s0, 0, v26, s0
	v_sub_co_u32 v29, s0, v21, s38
	v_sub_co_ci_u32_e32 v22, vcc_lo, v24, v22, vcc_lo
	v_subrev_co_ci_u32_e64 v23, s0, 0, v23, s0
	v_cmp_le_u32_e32 vcc_lo, s38, v29
	s_delay_alu instid0(VALU_DEP_3) | instskip(SKIP_1) | instid1(VALU_DEP_4)
	v_cmp_eq_u32_e64 s0, s39, v22
	v_cndmask_b32_e64 v24, 0, -1, vcc_lo
	v_cmp_le_u32_e32 vcc_lo, s39, v23
	v_cndmask_b32_e64 v29, 0, -1, vcc_lo
	v_cmp_le_u32_e32 vcc_lo, s38, v21
	;; [unrolled: 2-line block ×3, first 2 shown]
	v_cndmask_b32_e64 v30, 0, -1, vcc_lo
	v_cmp_eq_u32_e32 vcc_lo, s39, v23
	s_delay_alu instid0(VALU_DEP_2) | instskip(SKIP_3) | instid1(VALU_DEP_3)
	v_cndmask_b32_e64 v21, v30, v21, s0
	v_cndmask_b32_e32 v23, v29, v24, vcc_lo
	v_add_co_u32 v24, vcc_lo, v25, 1
	v_add_co_ci_u32_e32 v29, vcc_lo, 0, v26, vcc_lo
	v_cmp_ne_u32_e32 vcc_lo, 0, v23
	s_delay_alu instid0(VALU_DEP_2) | instskip(SKIP_1) | instid1(VALU_DEP_2)
	v_dual_cndmask_b32 v22, v29, v28 :: v_dual_cndmask_b32 v23, v24, v27
	v_cmp_ne_u32_e32 vcc_lo, 0, v21
	v_dual_cndmask_b32 v22, v26, v22 :: v_dual_cndmask_b32 v21, v25, v23
                                        ; implicit-def: $vgpr23
.LBB43_205:
	s_and_not1_saveexec_b32 s0, s1
	s_cbranch_execz .LBB43_207
; %bb.206:
	v_cvt_f32_u32_e32 v21, s38
	s_sub_i32 s1, 0, s38
	s_delay_alu instid0(VALU_DEP_1) | instskip(SKIP_2) | instid1(VALU_DEP_1)
	v_rcp_iflag_f32_e32 v21, v21
	s_waitcnt_depctr 0xfff
	v_mul_f32_e32 v21, 0x4f7ffffe, v21
	v_cvt_u32_f32_e32 v21, v21
	s_delay_alu instid0(VALU_DEP_1) | instskip(NEXT) | instid1(VALU_DEP_1)
	v_mul_lo_u32 v22, s1, v21
	v_mul_hi_u32 v22, v21, v22
	s_delay_alu instid0(VALU_DEP_1) | instskip(NEXT) | instid1(VALU_DEP_1)
	v_add_nc_u32_e32 v21, v21, v22
	v_mul_hi_u32 v21, v23, v21
	s_delay_alu instid0(VALU_DEP_1) | instskip(NEXT) | instid1(VALU_DEP_1)
	v_mul_lo_u32 v22, v21, s38
	v_sub_nc_u32_e32 v22, v23, v22
	v_add_nc_u32_e32 v23, 1, v21
	s_delay_alu instid0(VALU_DEP_2) | instskip(SKIP_1) | instid1(VALU_DEP_2)
	v_subrev_nc_u32_e32 v24, s38, v22
	v_cmp_le_u32_e32 vcc_lo, s38, v22
	v_dual_cndmask_b32 v22, v22, v24 :: v_dual_cndmask_b32 v21, v21, v23
	s_delay_alu instid0(VALU_DEP_1) | instskip(NEXT) | instid1(VALU_DEP_2)
	v_cmp_le_u32_e32 vcc_lo, s38, v22
	v_dual_mov_b32 v22, 0 :: v_dual_add_nc_u32 v23, 1, v21
	s_delay_alu instid0(VALU_DEP_1)
	v_cndmask_b32_e32 v21, v21, v23, vcc_lo
.LBB43_207:
	s_or_b32 exec_lo, exec_lo, s0
	v_add_co_u32 v25, vcc_lo, 0xb00, v31
	v_add_co_ci_u32_e32 v26, vcc_lo, 0, v32, vcc_lo
	v_mov_b32_e32 v23, 0
	s_delay_alu instid0(VALU_DEP_2) | instskip(NEXT) | instid1(VALU_DEP_1)
	v_or_b32_e32 v24, s39, v26
	v_cmp_ne_u64_e32 vcc_lo, 0, v[23:24]
                                        ; implicit-def: $vgpr23_vgpr24
	s_and_saveexec_b32 s0, vcc_lo
	s_delay_alu instid0(SALU_CYCLE_1)
	s_xor_b32 s1, exec_lo, s0
	s_cbranch_execz .LBB43_209
; %bb.208:
	v_cvt_f32_u32_e32 v23, s38
	v_cvt_f32_u32_e32 v24, s39
	s_sub_u32 s0, 0, s38
	s_subb_u32 s4, 0, s39
	s_delay_alu instid0(VALU_DEP_1) | instskip(NEXT) | instid1(VALU_DEP_1)
	v_fmamk_f32 v23, v24, 0x4f800000, v23
	v_rcp_f32_e32 v23, v23
	s_waitcnt_depctr 0xfff
	v_mul_f32_e32 v23, 0x5f7ffffc, v23
	s_delay_alu instid0(VALU_DEP_1) | instskip(NEXT) | instid1(VALU_DEP_1)
	v_mul_f32_e32 v24, 0x2f800000, v23
	v_trunc_f32_e32 v24, v24
	s_delay_alu instid0(VALU_DEP_1) | instskip(SKIP_1) | instid1(VALU_DEP_2)
	v_fmamk_f32 v23, v24, 0xcf800000, v23
	v_cvt_u32_f32_e32 v24, v24
	v_cvt_u32_f32_e32 v23, v23
	s_delay_alu instid0(VALU_DEP_2) | instskip(NEXT) | instid1(VALU_DEP_2)
	v_mul_lo_u32 v27, s0, v24
	v_mul_hi_u32 v28, s0, v23
	v_mul_lo_u32 v29, s4, v23
	s_delay_alu instid0(VALU_DEP_2) | instskip(SKIP_1) | instid1(VALU_DEP_2)
	v_add_nc_u32_e32 v27, v28, v27
	v_mul_lo_u32 v28, s0, v23
	v_add_nc_u32_e32 v27, v27, v29
	s_delay_alu instid0(VALU_DEP_2) | instskip(NEXT) | instid1(VALU_DEP_2)
	v_mul_hi_u32 v29, v23, v28
	v_mul_lo_u32 v30, v23, v27
	v_mul_hi_u32 v33, v23, v27
	v_mul_hi_u32 v34, v24, v28
	v_mul_lo_u32 v28, v24, v28
	s_waitcnt lgkmcnt(0)
	v_mul_hi_u32 v35, v24, v27
	v_mul_lo_u32 v27, v24, v27
	v_add_co_u32 v29, vcc_lo, v29, v30
	v_add_co_ci_u32_e32 v30, vcc_lo, 0, v33, vcc_lo
	s_delay_alu instid0(VALU_DEP_2) | instskip(NEXT) | instid1(VALU_DEP_2)
	v_add_co_u32 v28, vcc_lo, v29, v28
	v_add_co_ci_u32_e32 v28, vcc_lo, v30, v34, vcc_lo
	v_add_co_ci_u32_e32 v29, vcc_lo, 0, v35, vcc_lo
	s_delay_alu instid0(VALU_DEP_2) | instskip(NEXT) | instid1(VALU_DEP_2)
	v_add_co_u32 v27, vcc_lo, v28, v27
	v_add_co_ci_u32_e32 v28, vcc_lo, 0, v29, vcc_lo
	s_delay_alu instid0(VALU_DEP_2) | instskip(NEXT) | instid1(VALU_DEP_2)
	v_add_co_u32 v23, vcc_lo, v23, v27
	v_add_co_ci_u32_e32 v24, vcc_lo, v24, v28, vcc_lo
	s_delay_alu instid0(VALU_DEP_2) | instskip(SKIP_1) | instid1(VALU_DEP_3)
	v_mul_hi_u32 v27, s0, v23
	v_mul_lo_u32 v29, s4, v23
	v_mul_lo_u32 v28, s0, v24
	s_delay_alu instid0(VALU_DEP_1) | instskip(SKIP_1) | instid1(VALU_DEP_2)
	v_add_nc_u32_e32 v27, v27, v28
	v_mul_lo_u32 v28, s0, v23
	v_add_nc_u32_e32 v27, v27, v29
	s_delay_alu instid0(VALU_DEP_2) | instskip(NEXT) | instid1(VALU_DEP_2)
	v_mul_hi_u32 v29, v23, v28
	v_mul_lo_u32 v30, v23, v27
	v_mul_hi_u32 v33, v23, v27
	v_mul_hi_u32 v34, v24, v28
	v_mul_lo_u32 v28, v24, v28
	v_mul_hi_u32 v35, v24, v27
	v_mul_lo_u32 v27, v24, v27
	v_add_co_u32 v29, vcc_lo, v29, v30
	v_add_co_ci_u32_e32 v30, vcc_lo, 0, v33, vcc_lo
	s_delay_alu instid0(VALU_DEP_2) | instskip(NEXT) | instid1(VALU_DEP_2)
	v_add_co_u32 v28, vcc_lo, v29, v28
	v_add_co_ci_u32_e32 v28, vcc_lo, v30, v34, vcc_lo
	v_add_co_ci_u32_e32 v29, vcc_lo, 0, v35, vcc_lo
	s_delay_alu instid0(VALU_DEP_2) | instskip(NEXT) | instid1(VALU_DEP_2)
	v_add_co_u32 v27, vcc_lo, v28, v27
	v_add_co_ci_u32_e32 v28, vcc_lo, 0, v29, vcc_lo
	s_delay_alu instid0(VALU_DEP_2) | instskip(NEXT) | instid1(VALU_DEP_2)
	v_add_co_u32 v29, vcc_lo, v23, v27
	v_add_co_ci_u32_e32 v33, vcc_lo, v24, v28, vcc_lo
	s_delay_alu instid0(VALU_DEP_2) | instskip(SKIP_1) | instid1(VALU_DEP_3)
	v_mul_hi_u32 v34, v25, v29
	v_mad_u64_u32 v[27:28], null, v26, v29, 0
	v_mad_u64_u32 v[23:24], null, v25, v33, 0
	;; [unrolled: 1-line block ×3, first 2 shown]
	s_delay_alu instid0(VALU_DEP_2) | instskip(NEXT) | instid1(VALU_DEP_3)
	v_add_co_u32 v23, vcc_lo, v34, v23
	v_add_co_ci_u32_e32 v24, vcc_lo, 0, v24, vcc_lo
	s_delay_alu instid0(VALU_DEP_2) | instskip(NEXT) | instid1(VALU_DEP_2)
	v_add_co_u32 v23, vcc_lo, v23, v27
	v_add_co_ci_u32_e32 v23, vcc_lo, v24, v28, vcc_lo
	v_add_co_ci_u32_e32 v24, vcc_lo, 0, v30, vcc_lo
	s_delay_alu instid0(VALU_DEP_2) | instskip(NEXT) | instid1(VALU_DEP_2)
	v_add_co_u32 v27, vcc_lo, v23, v29
	v_add_co_ci_u32_e32 v28, vcc_lo, 0, v24, vcc_lo
	s_delay_alu instid0(VALU_DEP_2) | instskip(SKIP_1) | instid1(VALU_DEP_3)
	v_mul_lo_u32 v29, s39, v27
	v_mad_u64_u32 v[23:24], null, s38, v27, 0
	v_mul_lo_u32 v30, s38, v28
	s_delay_alu instid0(VALU_DEP_2) | instskip(NEXT) | instid1(VALU_DEP_2)
	v_sub_co_u32 v23, vcc_lo, v25, v23
	v_add3_u32 v24, v24, v30, v29
	s_delay_alu instid0(VALU_DEP_1) | instskip(NEXT) | instid1(VALU_DEP_1)
	v_sub_nc_u32_e32 v29, v26, v24
	v_subrev_co_ci_u32_e64 v25, s0, s39, v29, vcc_lo
	v_add_co_u32 v29, s0, v27, 2
	s_delay_alu instid0(VALU_DEP_1) | instskip(SKIP_3) | instid1(VALU_DEP_3)
	v_add_co_ci_u32_e64 v30, s0, 0, v28, s0
	v_sub_co_u32 v33, s0, v23, s38
	v_sub_co_ci_u32_e32 v24, vcc_lo, v26, v24, vcc_lo
	v_subrev_co_ci_u32_e64 v25, s0, 0, v25, s0
	v_cmp_le_u32_e32 vcc_lo, s38, v33
	s_delay_alu instid0(VALU_DEP_3) | instskip(SKIP_1) | instid1(VALU_DEP_4)
	v_cmp_eq_u32_e64 s0, s39, v24
	v_cndmask_b32_e64 v26, 0, -1, vcc_lo
	v_cmp_le_u32_e32 vcc_lo, s39, v25
	v_cndmask_b32_e64 v33, 0, -1, vcc_lo
	v_cmp_le_u32_e32 vcc_lo, s38, v23
	;; [unrolled: 2-line block ×3, first 2 shown]
	v_cndmask_b32_e64 v34, 0, -1, vcc_lo
	v_cmp_eq_u32_e32 vcc_lo, s39, v25
	s_delay_alu instid0(VALU_DEP_2) | instskip(SKIP_3) | instid1(VALU_DEP_3)
	v_cndmask_b32_e64 v23, v34, v23, s0
	v_cndmask_b32_e32 v25, v33, v26, vcc_lo
	v_add_co_u32 v26, vcc_lo, v27, 1
	v_add_co_ci_u32_e32 v33, vcc_lo, 0, v28, vcc_lo
	v_cmp_ne_u32_e32 vcc_lo, 0, v25
	s_delay_alu instid0(VALU_DEP_2) | instskip(SKIP_1) | instid1(VALU_DEP_2)
	v_dual_cndmask_b32 v24, v33, v30 :: v_dual_cndmask_b32 v25, v26, v29
	v_cmp_ne_u32_e32 vcc_lo, 0, v23
	v_dual_cndmask_b32 v24, v28, v24 :: v_dual_cndmask_b32 v23, v27, v25
                                        ; implicit-def: $vgpr25
.LBB43_209:
	s_and_not1_saveexec_b32 s0, s1
	s_cbranch_execz .LBB43_211
; %bb.210:
	v_cvt_f32_u32_e32 v23, s38
	s_sub_i32 s1, 0, s38
	s_delay_alu instid0(VALU_DEP_1) | instskip(SKIP_2) | instid1(VALU_DEP_1)
	v_rcp_iflag_f32_e32 v23, v23
	s_waitcnt_depctr 0xfff
	v_mul_f32_e32 v23, 0x4f7ffffe, v23
	v_cvt_u32_f32_e32 v23, v23
	s_delay_alu instid0(VALU_DEP_1) | instskip(NEXT) | instid1(VALU_DEP_1)
	v_mul_lo_u32 v24, s1, v23
	v_mul_hi_u32 v24, v23, v24
	s_delay_alu instid0(VALU_DEP_1) | instskip(NEXT) | instid1(VALU_DEP_1)
	v_add_nc_u32_e32 v23, v23, v24
	v_mul_hi_u32 v23, v25, v23
	s_delay_alu instid0(VALU_DEP_1) | instskip(NEXT) | instid1(VALU_DEP_1)
	v_mul_lo_u32 v24, v23, s38
	v_sub_nc_u32_e32 v24, v25, v24
	v_add_nc_u32_e32 v25, 1, v23
	s_delay_alu instid0(VALU_DEP_2) | instskip(SKIP_1) | instid1(VALU_DEP_2)
	v_subrev_nc_u32_e32 v26, s38, v24
	v_cmp_le_u32_e32 vcc_lo, s38, v24
	v_dual_cndmask_b32 v24, v24, v26 :: v_dual_cndmask_b32 v23, v23, v25
	s_delay_alu instid0(VALU_DEP_1) | instskip(NEXT) | instid1(VALU_DEP_2)
	v_cmp_le_u32_e32 vcc_lo, s38, v24
	v_dual_mov_b32 v24, 0 :: v_dual_add_nc_u32 v25, 1, v23
	s_delay_alu instid0(VALU_DEP_1)
	v_cndmask_b32_e32 v23, v23, v25, vcc_lo
.LBB43_211:
	s_or_b32 exec_lo, exec_lo, s0
	v_add_co_u32 v27, vcc_lo, 0xc00, v31
	v_add_co_ci_u32_e32 v28, vcc_lo, 0, v32, vcc_lo
	v_mov_b32_e32 v25, 0
	s_delay_alu instid0(VALU_DEP_2) | instskip(NEXT) | instid1(VALU_DEP_1)
	v_or_b32_e32 v26, s39, v28
	v_cmp_ne_u64_e32 vcc_lo, 0, v[25:26]
                                        ; implicit-def: $vgpr25_vgpr26
	s_and_saveexec_b32 s0, vcc_lo
	s_delay_alu instid0(SALU_CYCLE_1)
	s_xor_b32 s1, exec_lo, s0
	s_cbranch_execz .LBB43_213
; %bb.212:
	v_cvt_f32_u32_e32 v25, s38
	v_cvt_f32_u32_e32 v26, s39
	s_sub_u32 s0, 0, s38
	s_subb_u32 s4, 0, s39
	s_delay_alu instid0(VALU_DEP_1) | instskip(NEXT) | instid1(VALU_DEP_1)
	v_fmamk_f32 v25, v26, 0x4f800000, v25
	v_rcp_f32_e32 v25, v25
	s_waitcnt_depctr 0xfff
	v_mul_f32_e32 v25, 0x5f7ffffc, v25
	s_delay_alu instid0(VALU_DEP_1) | instskip(NEXT) | instid1(VALU_DEP_1)
	v_mul_f32_e32 v26, 0x2f800000, v25
	v_trunc_f32_e32 v26, v26
	s_delay_alu instid0(VALU_DEP_1) | instskip(SKIP_1) | instid1(VALU_DEP_2)
	v_fmamk_f32 v25, v26, 0xcf800000, v25
	v_cvt_u32_f32_e32 v26, v26
	v_cvt_u32_f32_e32 v25, v25
	s_delay_alu instid0(VALU_DEP_2) | instskip(NEXT) | instid1(VALU_DEP_2)
	v_mul_lo_u32 v29, s0, v26
	v_mul_hi_u32 v30, s0, v25
	v_mul_lo_u32 v33, s4, v25
	s_delay_alu instid0(VALU_DEP_2) | instskip(SKIP_1) | instid1(VALU_DEP_2)
	v_add_nc_u32_e32 v29, v30, v29
	v_mul_lo_u32 v30, s0, v25
	v_add_nc_u32_e32 v29, v29, v33
	s_delay_alu instid0(VALU_DEP_2) | instskip(NEXT) | instid1(VALU_DEP_2)
	v_mul_hi_u32 v33, v25, v30
	v_mul_lo_u32 v34, v25, v29
	s_waitcnt lgkmcnt(0)
	v_mul_hi_u32 v35, v25, v29
	v_mul_hi_u32 v36, v26, v30
	v_mul_lo_u32 v30, v26, v30
	v_mul_hi_u32 v37, v26, v29
	v_mul_lo_u32 v29, v26, v29
	v_add_co_u32 v33, vcc_lo, v33, v34
	v_add_co_ci_u32_e32 v34, vcc_lo, 0, v35, vcc_lo
	s_delay_alu instid0(VALU_DEP_2) | instskip(NEXT) | instid1(VALU_DEP_2)
	v_add_co_u32 v30, vcc_lo, v33, v30
	v_add_co_ci_u32_e32 v30, vcc_lo, v34, v36, vcc_lo
	v_add_co_ci_u32_e32 v33, vcc_lo, 0, v37, vcc_lo
	s_delay_alu instid0(VALU_DEP_2) | instskip(NEXT) | instid1(VALU_DEP_2)
	v_add_co_u32 v29, vcc_lo, v30, v29
	v_add_co_ci_u32_e32 v30, vcc_lo, 0, v33, vcc_lo
	s_delay_alu instid0(VALU_DEP_2) | instskip(NEXT) | instid1(VALU_DEP_2)
	v_add_co_u32 v25, vcc_lo, v25, v29
	v_add_co_ci_u32_e32 v26, vcc_lo, v26, v30, vcc_lo
	s_delay_alu instid0(VALU_DEP_2) | instskip(SKIP_1) | instid1(VALU_DEP_3)
	v_mul_hi_u32 v29, s0, v25
	v_mul_lo_u32 v33, s4, v25
	v_mul_lo_u32 v30, s0, v26
	s_delay_alu instid0(VALU_DEP_1) | instskip(SKIP_1) | instid1(VALU_DEP_2)
	v_add_nc_u32_e32 v29, v29, v30
	v_mul_lo_u32 v30, s0, v25
	v_add_nc_u32_e32 v29, v29, v33
	s_delay_alu instid0(VALU_DEP_2) | instskip(NEXT) | instid1(VALU_DEP_2)
	v_mul_hi_u32 v33, v25, v30
	v_mul_lo_u32 v34, v25, v29
	v_mul_hi_u32 v35, v25, v29
	v_mul_hi_u32 v36, v26, v30
	v_mul_lo_u32 v30, v26, v30
	v_mul_hi_u32 v37, v26, v29
	v_mul_lo_u32 v29, v26, v29
	v_add_co_u32 v33, vcc_lo, v33, v34
	v_add_co_ci_u32_e32 v34, vcc_lo, 0, v35, vcc_lo
	s_delay_alu instid0(VALU_DEP_2) | instskip(NEXT) | instid1(VALU_DEP_2)
	v_add_co_u32 v30, vcc_lo, v33, v30
	v_add_co_ci_u32_e32 v30, vcc_lo, v34, v36, vcc_lo
	v_add_co_ci_u32_e32 v33, vcc_lo, 0, v37, vcc_lo
	s_delay_alu instid0(VALU_DEP_2) | instskip(NEXT) | instid1(VALU_DEP_2)
	v_add_co_u32 v29, vcc_lo, v30, v29
	v_add_co_ci_u32_e32 v30, vcc_lo, 0, v33, vcc_lo
	s_delay_alu instid0(VALU_DEP_2) | instskip(NEXT) | instid1(VALU_DEP_2)
	v_add_co_u32 v33, vcc_lo, v25, v29
	v_add_co_ci_u32_e32 v35, vcc_lo, v26, v30, vcc_lo
	s_delay_alu instid0(VALU_DEP_2) | instskip(SKIP_1) | instid1(VALU_DEP_3)
	v_mul_hi_u32 v36, v27, v33
	v_mad_u64_u32 v[29:30], null, v28, v33, 0
	v_mad_u64_u32 v[25:26], null, v27, v35, 0
	;; [unrolled: 1-line block ×3, first 2 shown]
	s_delay_alu instid0(VALU_DEP_2) | instskip(NEXT) | instid1(VALU_DEP_3)
	v_add_co_u32 v25, vcc_lo, v36, v25
	v_add_co_ci_u32_e32 v26, vcc_lo, 0, v26, vcc_lo
	s_delay_alu instid0(VALU_DEP_2) | instskip(NEXT) | instid1(VALU_DEP_2)
	v_add_co_u32 v25, vcc_lo, v25, v29
	v_add_co_ci_u32_e32 v25, vcc_lo, v26, v30, vcc_lo
	v_add_co_ci_u32_e32 v26, vcc_lo, 0, v34, vcc_lo
	s_delay_alu instid0(VALU_DEP_2) | instskip(NEXT) | instid1(VALU_DEP_2)
	v_add_co_u32 v29, vcc_lo, v25, v33
	v_add_co_ci_u32_e32 v30, vcc_lo, 0, v26, vcc_lo
	s_delay_alu instid0(VALU_DEP_2) | instskip(SKIP_1) | instid1(VALU_DEP_3)
	v_mul_lo_u32 v33, s39, v29
	v_mad_u64_u32 v[25:26], null, s38, v29, 0
	v_mul_lo_u32 v34, s38, v30
	s_delay_alu instid0(VALU_DEP_2) | instskip(NEXT) | instid1(VALU_DEP_2)
	v_sub_co_u32 v25, vcc_lo, v27, v25
	v_add3_u32 v26, v26, v34, v33
	s_delay_alu instid0(VALU_DEP_1) | instskip(NEXT) | instid1(VALU_DEP_1)
	v_sub_nc_u32_e32 v33, v28, v26
	v_subrev_co_ci_u32_e64 v27, s0, s39, v33, vcc_lo
	v_add_co_u32 v33, s0, v29, 2
	s_delay_alu instid0(VALU_DEP_1) | instskip(SKIP_3) | instid1(VALU_DEP_3)
	v_add_co_ci_u32_e64 v34, s0, 0, v30, s0
	v_sub_co_u32 v35, s0, v25, s38
	v_sub_co_ci_u32_e32 v26, vcc_lo, v28, v26, vcc_lo
	v_subrev_co_ci_u32_e64 v27, s0, 0, v27, s0
	v_cmp_le_u32_e32 vcc_lo, s38, v35
	s_delay_alu instid0(VALU_DEP_3) | instskip(SKIP_1) | instid1(VALU_DEP_4)
	v_cmp_eq_u32_e64 s0, s39, v26
	v_cndmask_b32_e64 v28, 0, -1, vcc_lo
	v_cmp_le_u32_e32 vcc_lo, s39, v27
	v_cndmask_b32_e64 v35, 0, -1, vcc_lo
	v_cmp_le_u32_e32 vcc_lo, s38, v25
	;; [unrolled: 2-line block ×3, first 2 shown]
	v_cndmask_b32_e64 v36, 0, -1, vcc_lo
	v_cmp_eq_u32_e32 vcc_lo, s39, v27
	s_delay_alu instid0(VALU_DEP_2) | instskip(SKIP_3) | instid1(VALU_DEP_3)
	v_cndmask_b32_e64 v25, v36, v25, s0
	v_cndmask_b32_e32 v27, v35, v28, vcc_lo
	v_add_co_u32 v28, vcc_lo, v29, 1
	v_add_co_ci_u32_e32 v35, vcc_lo, 0, v30, vcc_lo
	v_cmp_ne_u32_e32 vcc_lo, 0, v27
	s_delay_alu instid0(VALU_DEP_2) | instskip(SKIP_1) | instid1(VALU_DEP_2)
	v_dual_cndmask_b32 v26, v35, v34 :: v_dual_cndmask_b32 v27, v28, v33
	v_cmp_ne_u32_e32 vcc_lo, 0, v25
	v_dual_cndmask_b32 v26, v30, v26 :: v_dual_cndmask_b32 v25, v29, v27
                                        ; implicit-def: $vgpr27
.LBB43_213:
	s_and_not1_saveexec_b32 s0, s1
	s_cbranch_execz .LBB43_215
; %bb.214:
	v_cvt_f32_u32_e32 v25, s38
	s_sub_i32 s1, 0, s38
	s_delay_alu instid0(VALU_DEP_1) | instskip(SKIP_2) | instid1(VALU_DEP_1)
	v_rcp_iflag_f32_e32 v25, v25
	s_waitcnt_depctr 0xfff
	v_mul_f32_e32 v25, 0x4f7ffffe, v25
	v_cvt_u32_f32_e32 v25, v25
	s_delay_alu instid0(VALU_DEP_1) | instskip(NEXT) | instid1(VALU_DEP_1)
	v_mul_lo_u32 v26, s1, v25
	v_mul_hi_u32 v26, v25, v26
	s_delay_alu instid0(VALU_DEP_1) | instskip(NEXT) | instid1(VALU_DEP_1)
	v_add_nc_u32_e32 v25, v25, v26
	v_mul_hi_u32 v25, v27, v25
	s_delay_alu instid0(VALU_DEP_1) | instskip(NEXT) | instid1(VALU_DEP_1)
	v_mul_lo_u32 v26, v25, s38
	v_sub_nc_u32_e32 v26, v27, v26
	v_add_nc_u32_e32 v27, 1, v25
	s_delay_alu instid0(VALU_DEP_2) | instskip(SKIP_1) | instid1(VALU_DEP_2)
	v_subrev_nc_u32_e32 v28, s38, v26
	v_cmp_le_u32_e32 vcc_lo, s38, v26
	v_dual_cndmask_b32 v26, v26, v28 :: v_dual_cndmask_b32 v25, v25, v27
	s_delay_alu instid0(VALU_DEP_1) | instskip(NEXT) | instid1(VALU_DEP_2)
	v_cmp_le_u32_e32 vcc_lo, s38, v26
	v_dual_mov_b32 v26, 0 :: v_dual_add_nc_u32 v27, 1, v25
	s_delay_alu instid0(VALU_DEP_1)
	v_cndmask_b32_e32 v25, v25, v27, vcc_lo
.LBB43_215:
	s_or_b32 exec_lo, exec_lo, s0
	v_add_co_u32 v29, vcc_lo, 0xd00, v31
	v_add_co_ci_u32_e32 v30, vcc_lo, 0, v32, vcc_lo
	v_mov_b32_e32 v27, 0
	s_delay_alu instid0(VALU_DEP_2) | instskip(NEXT) | instid1(VALU_DEP_1)
	v_or_b32_e32 v28, s39, v30
	v_cmp_ne_u64_e32 vcc_lo, 0, v[27:28]
                                        ; implicit-def: $vgpr27_vgpr28
	s_and_saveexec_b32 s0, vcc_lo
	s_delay_alu instid0(SALU_CYCLE_1)
	s_xor_b32 s1, exec_lo, s0
	s_cbranch_execz .LBB43_217
; %bb.216:
	v_cvt_f32_u32_e32 v27, s38
	v_cvt_f32_u32_e32 v28, s39
	s_sub_u32 s0, 0, s38
	s_subb_u32 s4, 0, s39
	s_delay_alu instid0(VALU_DEP_1) | instskip(NEXT) | instid1(VALU_DEP_1)
	v_fmamk_f32 v27, v28, 0x4f800000, v27
	v_rcp_f32_e32 v27, v27
	s_waitcnt_depctr 0xfff
	v_mul_f32_e32 v27, 0x5f7ffffc, v27
	s_delay_alu instid0(VALU_DEP_1) | instskip(NEXT) | instid1(VALU_DEP_1)
	v_mul_f32_e32 v28, 0x2f800000, v27
	v_trunc_f32_e32 v28, v28
	s_delay_alu instid0(VALU_DEP_1) | instskip(SKIP_1) | instid1(VALU_DEP_2)
	v_fmamk_f32 v27, v28, 0xcf800000, v27
	v_cvt_u32_f32_e32 v28, v28
	v_cvt_u32_f32_e32 v27, v27
	s_delay_alu instid0(VALU_DEP_2) | instskip(NEXT) | instid1(VALU_DEP_2)
	v_mul_lo_u32 v33, s0, v28
	v_mul_hi_u32 v34, s0, v27
	s_waitcnt lgkmcnt(0)
	v_mul_lo_u32 v35, s4, v27
	s_delay_alu instid0(VALU_DEP_2) | instskip(SKIP_1) | instid1(VALU_DEP_2)
	v_add_nc_u32_e32 v33, v34, v33
	v_mul_lo_u32 v34, s0, v27
	v_add_nc_u32_e32 v33, v33, v35
	s_delay_alu instid0(VALU_DEP_2) | instskip(NEXT) | instid1(VALU_DEP_2)
	v_mul_hi_u32 v35, v27, v34
	v_mul_lo_u32 v36, v27, v33
	v_mul_hi_u32 v37, v27, v33
	v_mul_hi_u32 v38, v28, v34
	v_mul_lo_u32 v34, v28, v34
	v_mul_hi_u32 v39, v28, v33
	v_mul_lo_u32 v33, v28, v33
	v_add_co_u32 v35, vcc_lo, v35, v36
	v_add_co_ci_u32_e32 v36, vcc_lo, 0, v37, vcc_lo
	s_delay_alu instid0(VALU_DEP_2) | instskip(NEXT) | instid1(VALU_DEP_2)
	v_add_co_u32 v34, vcc_lo, v35, v34
	v_add_co_ci_u32_e32 v34, vcc_lo, v36, v38, vcc_lo
	v_add_co_ci_u32_e32 v35, vcc_lo, 0, v39, vcc_lo
	s_delay_alu instid0(VALU_DEP_2) | instskip(NEXT) | instid1(VALU_DEP_2)
	v_add_co_u32 v33, vcc_lo, v34, v33
	v_add_co_ci_u32_e32 v34, vcc_lo, 0, v35, vcc_lo
	s_delay_alu instid0(VALU_DEP_2) | instskip(NEXT) | instid1(VALU_DEP_2)
	v_add_co_u32 v27, vcc_lo, v27, v33
	v_add_co_ci_u32_e32 v28, vcc_lo, v28, v34, vcc_lo
	s_delay_alu instid0(VALU_DEP_2) | instskip(SKIP_1) | instid1(VALU_DEP_3)
	v_mul_hi_u32 v33, s0, v27
	v_mul_lo_u32 v35, s4, v27
	v_mul_lo_u32 v34, s0, v28
	s_delay_alu instid0(VALU_DEP_1) | instskip(SKIP_1) | instid1(VALU_DEP_2)
	v_add_nc_u32_e32 v33, v33, v34
	v_mul_lo_u32 v34, s0, v27
	v_add_nc_u32_e32 v33, v33, v35
	s_delay_alu instid0(VALU_DEP_2) | instskip(NEXT) | instid1(VALU_DEP_2)
	v_mul_hi_u32 v35, v27, v34
	v_mul_lo_u32 v36, v27, v33
	v_mul_hi_u32 v37, v27, v33
	v_mul_hi_u32 v38, v28, v34
	v_mul_lo_u32 v34, v28, v34
	v_mul_hi_u32 v39, v28, v33
	v_mul_lo_u32 v33, v28, v33
	v_add_co_u32 v35, vcc_lo, v35, v36
	v_add_co_ci_u32_e32 v36, vcc_lo, 0, v37, vcc_lo
	s_delay_alu instid0(VALU_DEP_2) | instskip(NEXT) | instid1(VALU_DEP_2)
	v_add_co_u32 v34, vcc_lo, v35, v34
	v_add_co_ci_u32_e32 v34, vcc_lo, v36, v38, vcc_lo
	v_add_co_ci_u32_e32 v35, vcc_lo, 0, v39, vcc_lo
	s_delay_alu instid0(VALU_DEP_2) | instskip(NEXT) | instid1(VALU_DEP_2)
	v_add_co_u32 v33, vcc_lo, v34, v33
	v_add_co_ci_u32_e32 v34, vcc_lo, 0, v35, vcc_lo
	s_delay_alu instid0(VALU_DEP_2) | instskip(NEXT) | instid1(VALU_DEP_2)
	v_add_co_u32 v35, vcc_lo, v27, v33
	v_add_co_ci_u32_e32 v37, vcc_lo, v28, v34, vcc_lo
	s_delay_alu instid0(VALU_DEP_2) | instskip(SKIP_1) | instid1(VALU_DEP_3)
	v_mul_hi_u32 v38, v29, v35
	v_mad_u64_u32 v[33:34], null, v30, v35, 0
	v_mad_u64_u32 v[27:28], null, v29, v37, 0
	;; [unrolled: 1-line block ×3, first 2 shown]
	s_delay_alu instid0(VALU_DEP_2) | instskip(NEXT) | instid1(VALU_DEP_3)
	v_add_co_u32 v27, vcc_lo, v38, v27
	v_add_co_ci_u32_e32 v28, vcc_lo, 0, v28, vcc_lo
	s_delay_alu instid0(VALU_DEP_2) | instskip(NEXT) | instid1(VALU_DEP_2)
	v_add_co_u32 v27, vcc_lo, v27, v33
	v_add_co_ci_u32_e32 v27, vcc_lo, v28, v34, vcc_lo
	v_add_co_ci_u32_e32 v28, vcc_lo, 0, v36, vcc_lo
	s_delay_alu instid0(VALU_DEP_2) | instskip(NEXT) | instid1(VALU_DEP_2)
	v_add_co_u32 v33, vcc_lo, v27, v35
	v_add_co_ci_u32_e32 v34, vcc_lo, 0, v28, vcc_lo
	s_delay_alu instid0(VALU_DEP_2) | instskip(SKIP_1) | instid1(VALU_DEP_3)
	v_mul_lo_u32 v35, s39, v33
	v_mad_u64_u32 v[27:28], null, s38, v33, 0
	v_mul_lo_u32 v36, s38, v34
	s_delay_alu instid0(VALU_DEP_2) | instskip(NEXT) | instid1(VALU_DEP_2)
	v_sub_co_u32 v27, vcc_lo, v29, v27
	v_add3_u32 v28, v28, v36, v35
	s_delay_alu instid0(VALU_DEP_1) | instskip(NEXT) | instid1(VALU_DEP_1)
	v_sub_nc_u32_e32 v35, v30, v28
	v_subrev_co_ci_u32_e64 v29, s0, s39, v35, vcc_lo
	v_add_co_u32 v35, s0, v33, 2
	s_delay_alu instid0(VALU_DEP_1) | instskip(SKIP_3) | instid1(VALU_DEP_3)
	v_add_co_ci_u32_e64 v36, s0, 0, v34, s0
	v_sub_co_u32 v37, s0, v27, s38
	v_sub_co_ci_u32_e32 v28, vcc_lo, v30, v28, vcc_lo
	v_subrev_co_ci_u32_e64 v29, s0, 0, v29, s0
	v_cmp_le_u32_e32 vcc_lo, s38, v37
	s_delay_alu instid0(VALU_DEP_3) | instskip(SKIP_1) | instid1(VALU_DEP_4)
	v_cmp_eq_u32_e64 s0, s39, v28
	v_cndmask_b32_e64 v30, 0, -1, vcc_lo
	v_cmp_le_u32_e32 vcc_lo, s39, v29
	v_cndmask_b32_e64 v37, 0, -1, vcc_lo
	v_cmp_le_u32_e32 vcc_lo, s38, v27
	v_cndmask_b32_e64 v27, 0, -1, vcc_lo
	v_cmp_le_u32_e32 vcc_lo, s39, v28
	v_cndmask_b32_e64 v38, 0, -1, vcc_lo
	v_cmp_eq_u32_e32 vcc_lo, s39, v29
	s_delay_alu instid0(VALU_DEP_2) | instskip(SKIP_3) | instid1(VALU_DEP_3)
	v_cndmask_b32_e64 v27, v38, v27, s0
	v_cndmask_b32_e32 v29, v37, v30, vcc_lo
	v_add_co_u32 v30, vcc_lo, v33, 1
	v_add_co_ci_u32_e32 v37, vcc_lo, 0, v34, vcc_lo
	v_cmp_ne_u32_e32 vcc_lo, 0, v29
	s_delay_alu instid0(VALU_DEP_2) | instskip(SKIP_1) | instid1(VALU_DEP_2)
	v_dual_cndmask_b32 v28, v37, v36 :: v_dual_cndmask_b32 v29, v30, v35
	v_cmp_ne_u32_e32 vcc_lo, 0, v27
	v_dual_cndmask_b32 v28, v34, v28 :: v_dual_cndmask_b32 v27, v33, v29
                                        ; implicit-def: $vgpr29
.LBB43_217:
	s_and_not1_saveexec_b32 s0, s1
	s_cbranch_execz .LBB43_219
; %bb.218:
	v_cvt_f32_u32_e32 v27, s38
	s_sub_i32 s1, 0, s38
	s_delay_alu instid0(VALU_DEP_1) | instskip(SKIP_2) | instid1(VALU_DEP_1)
	v_rcp_iflag_f32_e32 v27, v27
	s_waitcnt_depctr 0xfff
	v_mul_f32_e32 v27, 0x4f7ffffe, v27
	v_cvt_u32_f32_e32 v27, v27
	s_delay_alu instid0(VALU_DEP_1) | instskip(NEXT) | instid1(VALU_DEP_1)
	v_mul_lo_u32 v28, s1, v27
	v_mul_hi_u32 v28, v27, v28
	s_delay_alu instid0(VALU_DEP_1) | instskip(NEXT) | instid1(VALU_DEP_1)
	v_add_nc_u32_e32 v27, v27, v28
	v_mul_hi_u32 v27, v29, v27
	s_delay_alu instid0(VALU_DEP_1) | instskip(NEXT) | instid1(VALU_DEP_1)
	v_mul_lo_u32 v28, v27, s38
	v_sub_nc_u32_e32 v28, v29, v28
	v_add_nc_u32_e32 v29, 1, v27
	s_delay_alu instid0(VALU_DEP_2) | instskip(SKIP_1) | instid1(VALU_DEP_2)
	v_subrev_nc_u32_e32 v30, s38, v28
	v_cmp_le_u32_e32 vcc_lo, s38, v28
	v_dual_cndmask_b32 v28, v28, v30 :: v_dual_cndmask_b32 v27, v27, v29
	s_delay_alu instid0(VALU_DEP_1) | instskip(NEXT) | instid1(VALU_DEP_2)
	v_cmp_le_u32_e32 vcc_lo, s38, v28
	v_dual_mov_b32 v28, 0 :: v_dual_add_nc_u32 v29, 1, v27
	s_delay_alu instid0(VALU_DEP_1)
	v_cndmask_b32_e32 v27, v27, v29, vcc_lo
.LBB43_219:
	s_or_b32 exec_lo, exec_lo, s0
	v_add_co_u32 v33, vcc_lo, 0xe00, v31
	v_add_co_ci_u32_e32 v34, vcc_lo, 0, v32, vcc_lo
	v_mov_b32_e32 v29, 0
	s_delay_alu instid0(VALU_DEP_2) | instskip(NEXT) | instid1(VALU_DEP_1)
	v_or_b32_e32 v30, s39, v34
	v_cmp_ne_u64_e32 vcc_lo, 0, v[29:30]
                                        ; implicit-def: $vgpr29_vgpr30
	s_and_saveexec_b32 s0, vcc_lo
	s_delay_alu instid0(SALU_CYCLE_1)
	s_xor_b32 s1, exec_lo, s0
	s_cbranch_execz .LBB43_221
; %bb.220:
	v_cvt_f32_u32_e32 v29, s38
	v_cvt_f32_u32_e32 v30, s39
	s_sub_u32 s0, 0, s38
	s_subb_u32 s4, 0, s39
	s_delay_alu instid0(VALU_DEP_1) | instskip(NEXT) | instid1(VALU_DEP_1)
	v_fmamk_f32 v29, v30, 0x4f800000, v29
	v_rcp_f32_e32 v29, v29
	s_waitcnt_depctr 0xfff
	v_mul_f32_e32 v29, 0x5f7ffffc, v29
	s_delay_alu instid0(VALU_DEP_1) | instskip(NEXT) | instid1(VALU_DEP_1)
	v_mul_f32_e32 v30, 0x2f800000, v29
	v_trunc_f32_e32 v30, v30
	s_delay_alu instid0(VALU_DEP_1) | instskip(SKIP_1) | instid1(VALU_DEP_2)
	v_fmamk_f32 v29, v30, 0xcf800000, v29
	v_cvt_u32_f32_e32 v30, v30
	v_cvt_u32_f32_e32 v29, v29
	s_waitcnt lgkmcnt(0)
	s_delay_alu instid0(VALU_DEP_2) | instskip(NEXT) | instid1(VALU_DEP_2)
	v_mul_lo_u32 v35, s0, v30
	v_mul_hi_u32 v36, s0, v29
	v_mul_lo_u32 v37, s4, v29
	s_delay_alu instid0(VALU_DEP_2) | instskip(SKIP_1) | instid1(VALU_DEP_2)
	v_add_nc_u32_e32 v35, v36, v35
	v_mul_lo_u32 v36, s0, v29
	v_add_nc_u32_e32 v35, v35, v37
	s_delay_alu instid0(VALU_DEP_2) | instskip(NEXT) | instid1(VALU_DEP_2)
	v_mul_hi_u32 v37, v29, v36
	v_mul_lo_u32 v38, v29, v35
	v_mul_hi_u32 v39, v29, v35
	v_mul_hi_u32 v40, v30, v36
	v_mul_lo_u32 v36, v30, v36
	v_mul_hi_u32 v41, v30, v35
	v_mul_lo_u32 v35, v30, v35
	v_add_co_u32 v37, vcc_lo, v37, v38
	v_add_co_ci_u32_e32 v38, vcc_lo, 0, v39, vcc_lo
	s_delay_alu instid0(VALU_DEP_2) | instskip(NEXT) | instid1(VALU_DEP_2)
	v_add_co_u32 v36, vcc_lo, v37, v36
	v_add_co_ci_u32_e32 v36, vcc_lo, v38, v40, vcc_lo
	v_add_co_ci_u32_e32 v37, vcc_lo, 0, v41, vcc_lo
	s_delay_alu instid0(VALU_DEP_2) | instskip(NEXT) | instid1(VALU_DEP_2)
	v_add_co_u32 v35, vcc_lo, v36, v35
	v_add_co_ci_u32_e32 v36, vcc_lo, 0, v37, vcc_lo
	s_delay_alu instid0(VALU_DEP_2) | instskip(NEXT) | instid1(VALU_DEP_2)
	v_add_co_u32 v29, vcc_lo, v29, v35
	v_add_co_ci_u32_e32 v30, vcc_lo, v30, v36, vcc_lo
	s_delay_alu instid0(VALU_DEP_2) | instskip(SKIP_1) | instid1(VALU_DEP_3)
	v_mul_hi_u32 v35, s0, v29
	v_mul_lo_u32 v37, s4, v29
	v_mul_lo_u32 v36, s0, v30
	s_delay_alu instid0(VALU_DEP_1) | instskip(SKIP_1) | instid1(VALU_DEP_2)
	v_add_nc_u32_e32 v35, v35, v36
	v_mul_lo_u32 v36, s0, v29
	v_add_nc_u32_e32 v35, v35, v37
	s_delay_alu instid0(VALU_DEP_2) | instskip(NEXT) | instid1(VALU_DEP_2)
	v_mul_hi_u32 v37, v29, v36
	v_mul_lo_u32 v38, v29, v35
	v_mul_hi_u32 v39, v29, v35
	v_mul_hi_u32 v40, v30, v36
	v_mul_lo_u32 v36, v30, v36
	v_mul_hi_u32 v41, v30, v35
	v_mul_lo_u32 v35, v30, v35
	v_add_co_u32 v37, vcc_lo, v37, v38
	v_add_co_ci_u32_e32 v38, vcc_lo, 0, v39, vcc_lo
	s_delay_alu instid0(VALU_DEP_2) | instskip(NEXT) | instid1(VALU_DEP_2)
	v_add_co_u32 v36, vcc_lo, v37, v36
	v_add_co_ci_u32_e32 v36, vcc_lo, v38, v40, vcc_lo
	v_add_co_ci_u32_e32 v37, vcc_lo, 0, v41, vcc_lo
	s_delay_alu instid0(VALU_DEP_2) | instskip(NEXT) | instid1(VALU_DEP_2)
	v_add_co_u32 v35, vcc_lo, v36, v35
	v_add_co_ci_u32_e32 v36, vcc_lo, 0, v37, vcc_lo
	s_delay_alu instid0(VALU_DEP_2) | instskip(NEXT) | instid1(VALU_DEP_2)
	v_add_co_u32 v37, vcc_lo, v29, v35
	v_add_co_ci_u32_e32 v39, vcc_lo, v30, v36, vcc_lo
	s_delay_alu instid0(VALU_DEP_2) | instskip(SKIP_1) | instid1(VALU_DEP_3)
	v_mul_hi_u32 v40, v33, v37
	v_mad_u64_u32 v[35:36], null, v34, v37, 0
	v_mad_u64_u32 v[29:30], null, v33, v39, 0
	;; [unrolled: 1-line block ×3, first 2 shown]
	s_delay_alu instid0(VALU_DEP_2) | instskip(NEXT) | instid1(VALU_DEP_3)
	v_add_co_u32 v29, vcc_lo, v40, v29
	v_add_co_ci_u32_e32 v30, vcc_lo, 0, v30, vcc_lo
	s_delay_alu instid0(VALU_DEP_2) | instskip(NEXT) | instid1(VALU_DEP_2)
	v_add_co_u32 v29, vcc_lo, v29, v35
	v_add_co_ci_u32_e32 v29, vcc_lo, v30, v36, vcc_lo
	v_add_co_ci_u32_e32 v30, vcc_lo, 0, v38, vcc_lo
	s_delay_alu instid0(VALU_DEP_2) | instskip(NEXT) | instid1(VALU_DEP_2)
	v_add_co_u32 v35, vcc_lo, v29, v37
	v_add_co_ci_u32_e32 v36, vcc_lo, 0, v30, vcc_lo
	s_delay_alu instid0(VALU_DEP_2) | instskip(SKIP_1) | instid1(VALU_DEP_3)
	v_mul_lo_u32 v37, s39, v35
	v_mad_u64_u32 v[29:30], null, s38, v35, 0
	v_mul_lo_u32 v38, s38, v36
	s_delay_alu instid0(VALU_DEP_2) | instskip(NEXT) | instid1(VALU_DEP_2)
	v_sub_co_u32 v29, vcc_lo, v33, v29
	v_add3_u32 v30, v30, v38, v37
	s_delay_alu instid0(VALU_DEP_1) | instskip(NEXT) | instid1(VALU_DEP_1)
	v_sub_nc_u32_e32 v37, v34, v30
	v_subrev_co_ci_u32_e64 v33, s0, s39, v37, vcc_lo
	v_add_co_u32 v37, s0, v35, 2
	s_delay_alu instid0(VALU_DEP_1) | instskip(SKIP_3) | instid1(VALU_DEP_3)
	v_add_co_ci_u32_e64 v38, s0, 0, v36, s0
	v_sub_co_u32 v39, s0, v29, s38
	v_sub_co_ci_u32_e32 v30, vcc_lo, v34, v30, vcc_lo
	v_subrev_co_ci_u32_e64 v33, s0, 0, v33, s0
	v_cmp_le_u32_e32 vcc_lo, s38, v39
	s_delay_alu instid0(VALU_DEP_3) | instskip(SKIP_1) | instid1(VALU_DEP_4)
	v_cmp_eq_u32_e64 s0, s39, v30
	v_cndmask_b32_e64 v34, 0, -1, vcc_lo
	v_cmp_le_u32_e32 vcc_lo, s39, v33
	v_cndmask_b32_e64 v39, 0, -1, vcc_lo
	v_cmp_le_u32_e32 vcc_lo, s38, v29
	;; [unrolled: 2-line block ×3, first 2 shown]
	v_cndmask_b32_e64 v40, 0, -1, vcc_lo
	v_cmp_eq_u32_e32 vcc_lo, s39, v33
	s_delay_alu instid0(VALU_DEP_2) | instskip(SKIP_3) | instid1(VALU_DEP_3)
	v_cndmask_b32_e64 v29, v40, v29, s0
	v_cndmask_b32_e32 v33, v39, v34, vcc_lo
	v_add_co_u32 v34, vcc_lo, v35, 1
	v_add_co_ci_u32_e32 v39, vcc_lo, 0, v36, vcc_lo
	v_cmp_ne_u32_e32 vcc_lo, 0, v33
	s_delay_alu instid0(VALU_DEP_2) | instskip(SKIP_1) | instid1(VALU_DEP_2)
	v_dual_cndmask_b32 v30, v39, v38 :: v_dual_cndmask_b32 v33, v34, v37
	v_cmp_ne_u32_e32 vcc_lo, 0, v29
	v_dual_cndmask_b32 v30, v36, v30 :: v_dual_cndmask_b32 v29, v35, v33
                                        ; implicit-def: $vgpr33
.LBB43_221:
	s_and_not1_saveexec_b32 s0, s1
	s_cbranch_execz .LBB43_223
; %bb.222:
	v_cvt_f32_u32_e32 v29, s38
	s_sub_i32 s1, 0, s38
	s_delay_alu instid0(VALU_DEP_1) | instskip(SKIP_2) | instid1(VALU_DEP_1)
	v_rcp_iflag_f32_e32 v29, v29
	s_waitcnt_depctr 0xfff
	v_mul_f32_e32 v29, 0x4f7ffffe, v29
	v_cvt_u32_f32_e32 v29, v29
	s_delay_alu instid0(VALU_DEP_1) | instskip(NEXT) | instid1(VALU_DEP_1)
	v_mul_lo_u32 v30, s1, v29
	v_mul_hi_u32 v30, v29, v30
	s_delay_alu instid0(VALU_DEP_1) | instskip(NEXT) | instid1(VALU_DEP_1)
	v_add_nc_u32_e32 v29, v29, v30
	v_mul_hi_u32 v29, v33, v29
	s_delay_alu instid0(VALU_DEP_1) | instskip(NEXT) | instid1(VALU_DEP_1)
	v_mul_lo_u32 v30, v29, s38
	v_sub_nc_u32_e32 v30, v33, v30
	v_add_nc_u32_e32 v33, 1, v29
	s_delay_alu instid0(VALU_DEP_2) | instskip(SKIP_1) | instid1(VALU_DEP_2)
	v_subrev_nc_u32_e32 v34, s38, v30
	v_cmp_le_u32_e32 vcc_lo, s38, v30
	v_dual_cndmask_b32 v30, v30, v34 :: v_dual_cndmask_b32 v29, v29, v33
	s_delay_alu instid0(VALU_DEP_1) | instskip(NEXT) | instid1(VALU_DEP_2)
	v_cmp_le_u32_e32 vcc_lo, s38, v30
	v_dual_mov_b32 v30, 0 :: v_dual_add_nc_u32 v33, 1, v29
	s_delay_alu instid0(VALU_DEP_1)
	v_cndmask_b32_e32 v29, v29, v33, vcc_lo
.LBB43_223:
	s_or_b32 exec_lo, exec_lo, s0
	v_add_co_u32 v33, vcc_lo, 0xf00, v31
	v_add_co_ci_u32_e32 v34, vcc_lo, 0, v32, vcc_lo
	v_mov_b32_e32 v31, 0
	s_delay_alu instid0(VALU_DEP_2) | instskip(NEXT) | instid1(VALU_DEP_1)
	v_or_b32_e32 v32, s39, v34
	v_cmp_ne_u64_e32 vcc_lo, 0, v[31:32]
                                        ; implicit-def: $vgpr31_vgpr32
	s_and_saveexec_b32 s0, vcc_lo
	s_delay_alu instid0(SALU_CYCLE_1)
	s_xor_b32 s1, exec_lo, s0
	s_cbranch_execz .LBB43_225
; %bb.224:
	v_cvt_f32_u32_e32 v31, s38
	v_cvt_f32_u32_e32 v32, s39
	s_sub_u32 s0, 0, s38
	s_subb_u32 s4, 0, s39
	s_delay_alu instid0(VALU_DEP_1) | instskip(NEXT) | instid1(VALU_DEP_1)
	v_fmamk_f32 v31, v32, 0x4f800000, v31
	v_rcp_f32_e32 v31, v31
	s_waitcnt_depctr 0xfff
	v_mul_f32_e32 v31, 0x5f7ffffc, v31
	s_delay_alu instid0(VALU_DEP_1) | instskip(NEXT) | instid1(VALU_DEP_1)
	v_mul_f32_e32 v32, 0x2f800000, v31
	v_trunc_f32_e32 v32, v32
	s_delay_alu instid0(VALU_DEP_1) | instskip(SKIP_1) | instid1(VALU_DEP_2)
	v_fmamk_f32 v31, v32, 0xcf800000, v31
	v_cvt_u32_f32_e32 v32, v32
	v_cvt_u32_f32_e32 v31, v31
	s_waitcnt lgkmcnt(0)
	s_delay_alu instid0(VALU_DEP_2) | instskip(NEXT) | instid1(VALU_DEP_2)
	v_mul_lo_u32 v35, s0, v32
	v_mul_hi_u32 v36, s0, v31
	v_mul_lo_u32 v37, s4, v31
	s_delay_alu instid0(VALU_DEP_2) | instskip(SKIP_1) | instid1(VALU_DEP_2)
	v_add_nc_u32_e32 v35, v36, v35
	v_mul_lo_u32 v36, s0, v31
	v_add_nc_u32_e32 v35, v35, v37
	s_delay_alu instid0(VALU_DEP_2) | instskip(NEXT) | instid1(VALU_DEP_2)
	v_mul_hi_u32 v37, v31, v36
	v_mul_lo_u32 v38, v31, v35
	v_mul_hi_u32 v39, v31, v35
	v_mul_hi_u32 v40, v32, v36
	v_mul_lo_u32 v36, v32, v36
	v_mul_hi_u32 v41, v32, v35
	v_mul_lo_u32 v35, v32, v35
	v_add_co_u32 v37, vcc_lo, v37, v38
	v_add_co_ci_u32_e32 v38, vcc_lo, 0, v39, vcc_lo
	s_delay_alu instid0(VALU_DEP_2) | instskip(NEXT) | instid1(VALU_DEP_2)
	v_add_co_u32 v36, vcc_lo, v37, v36
	v_add_co_ci_u32_e32 v36, vcc_lo, v38, v40, vcc_lo
	v_add_co_ci_u32_e32 v37, vcc_lo, 0, v41, vcc_lo
	s_delay_alu instid0(VALU_DEP_2) | instskip(NEXT) | instid1(VALU_DEP_2)
	v_add_co_u32 v35, vcc_lo, v36, v35
	v_add_co_ci_u32_e32 v36, vcc_lo, 0, v37, vcc_lo
	s_delay_alu instid0(VALU_DEP_2) | instskip(NEXT) | instid1(VALU_DEP_2)
	v_add_co_u32 v31, vcc_lo, v31, v35
	v_add_co_ci_u32_e32 v32, vcc_lo, v32, v36, vcc_lo
	s_delay_alu instid0(VALU_DEP_2) | instskip(SKIP_1) | instid1(VALU_DEP_3)
	v_mul_hi_u32 v35, s0, v31
	v_mul_lo_u32 v37, s4, v31
	v_mul_lo_u32 v36, s0, v32
	s_delay_alu instid0(VALU_DEP_1) | instskip(SKIP_1) | instid1(VALU_DEP_2)
	v_add_nc_u32_e32 v35, v35, v36
	v_mul_lo_u32 v36, s0, v31
	v_add_nc_u32_e32 v35, v35, v37
	s_delay_alu instid0(VALU_DEP_2) | instskip(NEXT) | instid1(VALU_DEP_2)
	v_mul_hi_u32 v37, v31, v36
	v_mul_lo_u32 v38, v31, v35
	v_mul_hi_u32 v39, v31, v35
	v_mul_hi_u32 v40, v32, v36
	v_mul_lo_u32 v36, v32, v36
	v_mul_hi_u32 v41, v32, v35
	v_mul_lo_u32 v35, v32, v35
	v_add_co_u32 v37, vcc_lo, v37, v38
	v_add_co_ci_u32_e32 v38, vcc_lo, 0, v39, vcc_lo
	s_delay_alu instid0(VALU_DEP_2) | instskip(NEXT) | instid1(VALU_DEP_2)
	v_add_co_u32 v36, vcc_lo, v37, v36
	v_add_co_ci_u32_e32 v36, vcc_lo, v38, v40, vcc_lo
	v_add_co_ci_u32_e32 v37, vcc_lo, 0, v41, vcc_lo
	s_delay_alu instid0(VALU_DEP_2) | instskip(NEXT) | instid1(VALU_DEP_2)
	v_add_co_u32 v35, vcc_lo, v36, v35
	v_add_co_ci_u32_e32 v36, vcc_lo, 0, v37, vcc_lo
	s_delay_alu instid0(VALU_DEP_2) | instskip(NEXT) | instid1(VALU_DEP_2)
	v_add_co_u32 v37, vcc_lo, v31, v35
	v_add_co_ci_u32_e32 v39, vcc_lo, v32, v36, vcc_lo
	s_delay_alu instid0(VALU_DEP_2) | instskip(SKIP_1) | instid1(VALU_DEP_3)
	v_mul_hi_u32 v40, v33, v37
	v_mad_u64_u32 v[35:36], null, v34, v37, 0
	v_mad_u64_u32 v[31:32], null, v33, v39, 0
	;; [unrolled: 1-line block ×3, first 2 shown]
	s_delay_alu instid0(VALU_DEP_2) | instskip(NEXT) | instid1(VALU_DEP_3)
	v_add_co_u32 v31, vcc_lo, v40, v31
	v_add_co_ci_u32_e32 v32, vcc_lo, 0, v32, vcc_lo
	s_delay_alu instid0(VALU_DEP_2) | instskip(NEXT) | instid1(VALU_DEP_2)
	v_add_co_u32 v31, vcc_lo, v31, v35
	v_add_co_ci_u32_e32 v31, vcc_lo, v32, v36, vcc_lo
	v_add_co_ci_u32_e32 v32, vcc_lo, 0, v38, vcc_lo
	s_delay_alu instid0(VALU_DEP_2) | instskip(NEXT) | instid1(VALU_DEP_2)
	v_add_co_u32 v35, vcc_lo, v31, v37
	v_add_co_ci_u32_e32 v36, vcc_lo, 0, v32, vcc_lo
	s_delay_alu instid0(VALU_DEP_2) | instskip(SKIP_1) | instid1(VALU_DEP_3)
	v_mul_lo_u32 v37, s39, v35
	v_mad_u64_u32 v[31:32], null, s38, v35, 0
	v_mul_lo_u32 v38, s38, v36
	s_delay_alu instid0(VALU_DEP_2) | instskip(NEXT) | instid1(VALU_DEP_2)
	v_sub_co_u32 v31, vcc_lo, v33, v31
	v_add3_u32 v32, v32, v38, v37
	s_delay_alu instid0(VALU_DEP_1) | instskip(NEXT) | instid1(VALU_DEP_1)
	v_sub_nc_u32_e32 v37, v34, v32
	v_subrev_co_ci_u32_e64 v33, s0, s39, v37, vcc_lo
	v_add_co_u32 v37, s0, v35, 2
	s_delay_alu instid0(VALU_DEP_1) | instskip(SKIP_3) | instid1(VALU_DEP_3)
	v_add_co_ci_u32_e64 v38, s0, 0, v36, s0
	v_sub_co_u32 v39, s0, v31, s38
	v_sub_co_ci_u32_e32 v32, vcc_lo, v34, v32, vcc_lo
	v_subrev_co_ci_u32_e64 v33, s0, 0, v33, s0
	v_cmp_le_u32_e32 vcc_lo, s38, v39
	s_delay_alu instid0(VALU_DEP_3) | instskip(SKIP_1) | instid1(VALU_DEP_4)
	v_cmp_eq_u32_e64 s0, s39, v32
	v_cndmask_b32_e64 v34, 0, -1, vcc_lo
	v_cmp_le_u32_e32 vcc_lo, s39, v33
	v_cndmask_b32_e64 v39, 0, -1, vcc_lo
	v_cmp_le_u32_e32 vcc_lo, s38, v31
	;; [unrolled: 2-line block ×3, first 2 shown]
	v_cndmask_b32_e64 v40, 0, -1, vcc_lo
	v_cmp_eq_u32_e32 vcc_lo, s39, v33
	s_delay_alu instid0(VALU_DEP_2) | instskip(SKIP_3) | instid1(VALU_DEP_3)
	v_cndmask_b32_e64 v31, v40, v31, s0
	v_cndmask_b32_e32 v33, v39, v34, vcc_lo
	v_add_co_u32 v34, vcc_lo, v35, 1
	v_add_co_ci_u32_e32 v39, vcc_lo, 0, v36, vcc_lo
	v_cmp_ne_u32_e32 vcc_lo, 0, v33
	s_delay_alu instid0(VALU_DEP_2) | instskip(SKIP_1) | instid1(VALU_DEP_2)
	v_dual_cndmask_b32 v32, v39, v38 :: v_dual_cndmask_b32 v33, v34, v37
	v_cmp_ne_u32_e32 vcc_lo, 0, v31
	v_dual_cndmask_b32 v32, v36, v32 :: v_dual_cndmask_b32 v31, v35, v33
                                        ; implicit-def: $vgpr33
.LBB43_225:
	s_and_not1_saveexec_b32 s0, s1
	s_cbranch_execz .LBB43_227
; %bb.226:
	v_cvt_f32_u32_e32 v31, s38
	s_sub_i32 s1, 0, s38
	s_delay_alu instid0(VALU_DEP_1) | instskip(SKIP_2) | instid1(VALU_DEP_1)
	v_rcp_iflag_f32_e32 v31, v31
	s_waitcnt_depctr 0xfff
	v_mul_f32_e32 v31, 0x4f7ffffe, v31
	v_cvt_u32_f32_e32 v31, v31
	s_delay_alu instid0(VALU_DEP_1) | instskip(NEXT) | instid1(VALU_DEP_1)
	v_mul_lo_u32 v32, s1, v31
	v_mul_hi_u32 v32, v31, v32
	s_delay_alu instid0(VALU_DEP_1) | instskip(NEXT) | instid1(VALU_DEP_1)
	v_add_nc_u32_e32 v31, v31, v32
	v_mul_hi_u32 v31, v33, v31
	s_delay_alu instid0(VALU_DEP_1) | instskip(NEXT) | instid1(VALU_DEP_1)
	v_mul_lo_u32 v32, v31, s38
	v_sub_nc_u32_e32 v32, v33, v32
	v_add_nc_u32_e32 v33, 1, v31
	s_delay_alu instid0(VALU_DEP_2) | instskip(SKIP_1) | instid1(VALU_DEP_2)
	v_subrev_nc_u32_e32 v34, s38, v32
	v_cmp_le_u32_e32 vcc_lo, s38, v32
	v_dual_cndmask_b32 v32, v32, v34 :: v_dual_cndmask_b32 v31, v31, v33
	s_delay_alu instid0(VALU_DEP_1) | instskip(NEXT) | instid1(VALU_DEP_2)
	v_cmp_le_u32_e32 vcc_lo, s38, v32
	v_dual_mov_b32 v32, 0 :: v_dual_add_nc_u32 v33, 1, v31
	s_delay_alu instid0(VALU_DEP_1)
	v_cndmask_b32_e32 v31, v31, v33, vcc_lo
.LBB43_227:
	s_or_b32 exec_lo, exec_lo, s0
	v_or_b32_e32 v33, 0x100, v0
	v_lshrrev_b32_e32 v34, 5, v0
	v_or_b32_e32 v36, 0x200, v0
	v_or_b32_e32 v37, 0x300, v0
	;; [unrolled: 1-line block ×3, first 2 shown]
	v_lshrrev_b32_e32 v33, 5, v33
	s_waitcnt lgkmcnt(0)
	v_add_nc_u32_e32 v35, v34, v0
	v_lshrrev_b32_e32 v34, 5, v36
	v_or_b32_e32 v39, 0x500, v0
	v_or_b32_e32 v41, 0x600, v0
	v_add_nc_u32_e32 v36, v33, v0
	v_lshrrev_b32_e32 v33, 5, v37
	v_lshrrev_b32_e32 v37, 5, v38
	v_lshlrev_b32_e32 v42, 3, v35
	v_add_nc_u32_e32 v40, v34, v0
	v_lshlrev_b32_e32 v43, 3, v36
	v_add_nc_u32_e32 v38, v33, v0
	v_add_nc_u32_e32 v37, v37, v0
	v_lshrrev_b32_e32 v39, 5, v39
	ds_store_b64 v42, v[1:2]
	ds_store_b64 v43, v[3:4] offset:2048
	v_lshlrev_b32_e32 v1, 3, v40
	v_lshrrev_b32_e32 v4, 5, v41
	v_lshlrev_b32_e32 v2, 3, v38
	v_lshlrev_b32_e32 v3, 3, v37
	v_add_nc_u32_e32 v39, v39, v0
	ds_store_b64 v1, v[5:6] offset:4096
	ds_store_b64 v2, v[7:8] offset:6144
	;; [unrolled: 1-line block ×3, first 2 shown]
	v_add_nc_u32_e32 v41, v4, v0
	v_or_b32_e32 v1, 0x700, v0
	v_lshlrev_b32_e32 v33, 3, v39
	v_or_b32_e32 v5, 0xa00, v0
	v_or_b32_e32 v2, 0x800, v0
	v_lshlrev_b32_e32 v4, 3, v41
	v_lshrrev_b32_e32 v1, 5, v1
	v_or_b32_e32 v3, 0x900, v0
	ds_store_b64 v33, v[11:12] offset:10240
	v_lshrrev_b32_e32 v2, 5, v2
	ds_store_b64 v4, v[13:14] offset:12288
	v_lshrrev_b32_e32 v4, 5, v5
	v_add_nc_u32_e32 v44, v1, v0
	v_or_b32_e32 v1, 0xb00, v0
	v_lshrrev_b32_e32 v3, 5, v3
	v_add_nc_u32_e32 v43, v2, v0
	v_add_nc_u32_e32 v45, v4, v0
	v_lshlrev_b32_e32 v2, 3, v44
	v_lshrrev_b32_e32 v1, 5, v1
	v_add_nc_u32_e32 v42, v3, v0
	v_lshlrev_b32_e32 v3, 3, v43
	v_lshlrev_b32_e32 v5, 3, v45
	s_cmp_eq_u64 s[42:43], 0
	v_add_nc_u32_e32 v46, v1, v0
	v_or_b32_e32 v1, 0xc00, v0
	v_lshlrev_b32_e32 v4, 3, v42
	ds_store_b64 v2, v[15:16] offset:14336
	ds_store_b64 v3, v[17:18] offset:16384
	;; [unrolled: 1-line block ×4, first 2 shown]
	v_lshlrev_b32_e32 v4, 3, v46
	v_or_b32_e32 v5, 0xf00, v0
	v_lshrrev_b32_e32 v1, 5, v1
	v_or_b32_e32 v2, 0xd00, v0
	v_or_b32_e32 v3, 0xe00, v0
	ds_store_b64 v4, v[23:24] offset:22528
	v_lshrrev_b32_e32 v4, 5, v5
	v_add_nc_u32_e32 v49, v1, v0
	v_lshrrev_b32_e32 v1, 1, v0
	v_lshrrev_b32_e32 v2, 5, v2
	;; [unrolled: 1-line block ×3, first 2 shown]
	v_add_nc_u32_e32 v51, v4, v0
	s_delay_alu instid0(VALU_DEP_4) | instskip(NEXT) | instid1(VALU_DEP_4)
	v_lshl_add_u32 v50, v0, 4, v1
	v_add_nc_u32_e32 v48, v2, v0
	s_delay_alu instid0(VALU_DEP_4)
	v_add_nc_u32_e32 v47, v3, v0
	v_lshlrev_b32_e32 v2, 3, v49
	v_lshlrev_b32_e32 v1, 3, v51
	;; [unrolled: 1-line block ×5, first 2 shown]
	ds_store_b64 v2, v[25:26] offset:24576
	ds_store_b64 v3, v[27:28] offset:26624
	;; [unrolled: 1-line block ×4, first 2 shown]
	s_waitcnt lgkmcnt(0)
	s_barrier
	buffer_gl0_inv
	ds_load_2addr_b64 v[29:32], v5 offset1:1
	ds_load_2addr_b64 v[25:28], v5 offset0:2 offset1:3
	ds_load_2addr_b64 v[21:24], v5 offset0:4 offset1:5
	;; [unrolled: 1-line block ×7, first 2 shown]
	s_cbranch_scc1 .LBB43_245
; %bb.228:
	s_and_not1_b32 vcc_lo, exec_lo, s51
	s_cbranch_vccnz .LBB43_246
; %bb.229:
	s_lshl_b64 s[0:1], s[42:43], 3
	s_delay_alu instid0(SALU_CYCLE_1)
	s_add_u32 s0, s26, s0
	s_addc_u32 s1, s27, s1
	s_add_u32 s0, s0, -8
	s_addc_u32 s1, s1, -1
	s_load_b64 s[0:1], s[0:1], 0x0
	s_waitcnt lgkmcnt(0)
	v_dual_mov_b32 v34, s1 :: v_dual_mov_b32 v33, s0
	s_cbranch_execz .LBB43_247
	s_branch .LBB43_250
.LBB43_230:
	v_lshlrev_b32_e32 v63, 2, v0
	s_delay_alu instid0(VALU_DEP_1) | instskip(NEXT) | instid1(VALU_DEP_1)
	v_add_co_u32 v63, s0, s33, v63
	v_add_co_ci_u32_e64 v64, null, s50, 0, s0
	flat_load_b32 v63, v[63:64]
	s_or_b32 exec_lo, exec_lo, s18
                                        ; implicit-def: $vgpr64
	s_and_saveexec_b32 s0, s1
	s_cbranch_execz .LBB43_117
.LBB43_231:
	v_lshlrev_b32_e32 v64, 2, v0
	s_delay_alu instid0(VALU_DEP_1) | instskip(NEXT) | instid1(VALU_DEP_1)
	v_add_co_u32 v68, s1, s33, v64
	v_add_co_ci_u32_e64 v69, null, s50, 0, s1
	flat_load_b32 v64, v[68:69] offset:1024
	s_or_b32 exec_lo, exec_lo, s0
                                        ; implicit-def: $vgpr66
	s_and_saveexec_b32 s0, s4
	s_cbranch_execz .LBB43_118
.LBB43_232:
	v_lshlrev_b32_e32 v66, 2, v0
	s_delay_alu instid0(VALU_DEP_1) | instskip(NEXT) | instid1(VALU_DEP_1)
	v_add_co_u32 v68, s1, s33, v66
	v_add_co_ci_u32_e64 v69, null, s50, 0, s1
	flat_load_b32 v66, v[68:69] offset:2048
	s_or_b32 exec_lo, exec_lo, s0
                                        ; implicit-def: $vgpr68
	s_and_saveexec_b32 s0, s5
	s_cbranch_execz .LBB43_119
.LBB43_233:
	v_lshlrev_b32_e32 v68, 2, v0
	s_delay_alu instid0(VALU_DEP_1) | instskip(NEXT) | instid1(VALU_DEP_1)
	v_add_co_u32 v68, s1, s33, v68
	v_add_co_ci_u32_e64 v69, null, s50, 0, s1
	flat_load_b32 v68, v[68:69] offset:3072
	s_or_b32 exec_lo, exec_lo, s0
                                        ; implicit-def: $vgpr69
	s_and_saveexec_b32 s0, s6
	s_cbranch_execz .LBB43_120
.LBB43_234:
	v_lshlrev_b32_e32 v36, 2, v36
	s_delay_alu instid0(VALU_DEP_1) | instskip(NEXT) | instid1(VALU_DEP_1)
	v_add_co_u32 v69, s1, s33, v36
	v_add_co_ci_u32_e64 v70, null, s50, 0, s1
	flat_load_b32 v69, v[69:70]
	s_or_b32 exec_lo, exec_lo, s0
                                        ; implicit-def: $vgpr36
	s_and_saveexec_b32 s0, s7
	s_cbranch_execz .LBB43_121
.LBB43_235:
	v_lshlrev_b32_e32 v36, 2, v38
	s_delay_alu instid0(VALU_DEP_1) | instskip(NEXT) | instid1(VALU_DEP_1)
	v_add_co_u32 v70, s1, s33, v36
	v_add_co_ci_u32_e64 v71, null, s50, 0, s1
	flat_load_b32 v36, v[70:71]
	s_or_b32 exec_lo, exec_lo, s0
                                        ; implicit-def: $vgpr38
	s_and_saveexec_b32 s0, s8
	s_cbranch_execz .LBB43_122
.LBB43_236:
	v_lshlrev_b32_e32 v38, 2, v40
	s_delay_alu instid0(VALU_DEP_1) | instskip(NEXT) | instid1(VALU_DEP_1)
	v_add_co_u32 v70, s1, s33, v38
	v_add_co_ci_u32_e64 v71, null, s50, 0, s1
	flat_load_b32 v38, v[70:71]
	s_or_b32 exec_lo, exec_lo, s0
                                        ; implicit-def: $vgpr40
	s_and_saveexec_b32 s0, s9
	s_cbranch_execz .LBB43_123
.LBB43_237:
	v_lshlrev_b32_e32 v40, 2, v41
	s_delay_alu instid0(VALU_DEP_1) | instskip(NEXT) | instid1(VALU_DEP_1)
	v_add_co_u32 v40, s1, s33, v40
	v_add_co_ci_u32_e64 v41, null, s50, 0, s1
	flat_load_b32 v40, v[40:41]
	s_or_b32 exec_lo, exec_lo, s0
                                        ; implicit-def: $vgpr41
	s_and_saveexec_b32 s0, s10
	s_cbranch_execz .LBB43_124
.LBB43_238:
	v_lshlrev_b32_e32 v41, 2, v42
	s_delay_alu instid0(VALU_DEP_1) | instskip(NEXT) | instid1(VALU_DEP_1)
	v_add_co_u32 v41, s1, s33, v41
	v_add_co_ci_u32_e64 v42, null, s50, 0, s1
	flat_load_b32 v41, v[41:42]
	s_or_b32 exec_lo, exec_lo, s0
                                        ; implicit-def: $vgpr42
	s_and_saveexec_b32 s0, s11
	s_cbranch_execz .LBB43_125
.LBB43_239:
	v_lshlrev_b32_e32 v42, 2, v43
	s_delay_alu instid0(VALU_DEP_1) | instskip(NEXT) | instid1(VALU_DEP_1)
	v_add_co_u32 v42, s1, s33, v42
	v_add_co_ci_u32_e64 v43, null, s50, 0, s1
	flat_load_b32 v42, v[42:43]
	s_or_b32 exec_lo, exec_lo, s0
                                        ; implicit-def: $vgpr43
	s_and_saveexec_b32 s0, s12
	s_cbranch_execz .LBB43_126
.LBB43_240:
	v_lshlrev_b32_e32 v43, 2, v44
	s_delay_alu instid0(VALU_DEP_1) | instskip(NEXT) | instid1(VALU_DEP_1)
	v_add_co_u32 v43, s1, s33, v43
	v_add_co_ci_u32_e64 v44, null, s50, 0, s1
	flat_load_b32 v43, v[43:44]
	s_or_b32 exec_lo, exec_lo, s0
                                        ; implicit-def: $vgpr44
	s_and_saveexec_b32 s0, s13
	s_cbranch_execz .LBB43_127
.LBB43_241:
	v_lshlrev_b32_e32 v44, 2, v45
	s_delay_alu instid0(VALU_DEP_1) | instskip(NEXT) | instid1(VALU_DEP_1)
	v_add_co_u32 v44, s1, s33, v44
	v_add_co_ci_u32_e64 v45, null, s50, 0, s1
	flat_load_b32 v44, v[44:45]
	s_or_b32 exec_lo, exec_lo, s0
                                        ; implicit-def: $vgpr45
	s_and_saveexec_b32 s0, s14
	s_cbranch_execz .LBB43_128
.LBB43_242:
	v_lshlrev_b32_e32 v45, 2, v46
	s_delay_alu instid0(VALU_DEP_1) | instskip(NEXT) | instid1(VALU_DEP_1)
	v_add_co_u32 v45, s1, s33, v45
	v_add_co_ci_u32_e64 v46, null, s50, 0, s1
	flat_load_b32 v45, v[45:46]
	s_or_b32 exec_lo, exec_lo, s0
                                        ; implicit-def: $vgpr46
	s_and_saveexec_b32 s0, s15
	s_cbranch_execz .LBB43_129
.LBB43_243:
	v_lshlrev_b32_e32 v46, 2, v47
	s_delay_alu instid0(VALU_DEP_1) | instskip(NEXT) | instid1(VALU_DEP_1)
	v_add_co_u32 v46, s1, s33, v46
	v_add_co_ci_u32_e64 v47, null, s50, 0, s1
	flat_load_b32 v46, v[46:47]
	s_or_b32 exec_lo, exec_lo, s0
                                        ; implicit-def: $vgpr47
	s_and_saveexec_b32 s0, s16
	s_cbranch_execz .LBB43_130
.LBB43_244:
	v_lshlrev_b32_e32 v47, 2, v48
	s_delay_alu instid0(VALU_DEP_1) | instskip(NEXT) | instid1(VALU_DEP_1)
	v_add_co_u32 v47, s1, s33, v47
	v_add_co_ci_u32_e64 v48, null, s50, 0, s1
	flat_load_b32 v47, v[47:48]
	s_or_b32 exec_lo, exec_lo, s0
                                        ; implicit-def: $vgpr48
	s_and_saveexec_b32 s0, s17
	s_cbranch_execnz .LBB43_131
	s_branch .LBB43_132
.LBB43_245:
                                        ; implicit-def: $vgpr33_vgpr34
	s_branch .LBB43_251
.LBB43_246:
                                        ; implicit-def: $sgpr0_sgpr1
	v_dual_mov_b32 v34, s1 :: v_dual_mov_b32 v33, s0
.LBB43_247:
	s_add_u32 s4, s40, -1
	s_addc_u32 s5, s41, -1
	s_delay_alu instid0(SALU_CYCLE_1) | instskip(SKIP_1) | instid1(SALU_CYCLE_1)
	s_or_b64 s[6:7], s[4:5], s[38:39]
	s_mov_b32 s6, 0
	s_cmp_lg_u64 s[6:7], 0
	s_cbranch_scc0 .LBB43_350
; %bb.248:
	v_cvt_f32_u32_e32 v33, s38
	v_cvt_f32_u32_e32 v34, s39
	s_sub_u32 s7, 0, s38
	s_subb_u32 s8, 0, s39
	s_delay_alu instid0(VALU_DEP_1) | instskip(NEXT) | instid1(VALU_DEP_1)
	v_fmamk_f32 v33, v34, 0x4f800000, v33
	v_rcp_f32_e32 v33, v33
	s_waitcnt_depctr 0xfff
	v_mul_f32_e32 v33, 0x5f7ffffc, v33
	s_delay_alu instid0(VALU_DEP_1) | instskip(NEXT) | instid1(VALU_DEP_1)
	v_mul_f32_e32 v34, 0x2f800000, v33
	v_trunc_f32_e32 v34, v34
	s_delay_alu instid0(VALU_DEP_1) | instskip(SKIP_1) | instid1(VALU_DEP_2)
	v_fmamk_f32 v33, v34, 0xcf800000, v33
	v_cvt_u32_f32_e32 v34, v34
	v_cvt_u32_f32_e32 v33, v33
	s_delay_alu instid0(VALU_DEP_2) | instskip(NEXT) | instid1(VALU_DEP_2)
	v_readfirstlane_b32 s0, v34
	v_readfirstlane_b32 s1, v33
	s_delay_alu instid0(VALU_DEP_2) | instskip(NEXT) | instid1(VALU_DEP_1)
	s_mul_i32 s9, s7, s0
	s_mul_hi_u32 s11, s7, s1
	s_mul_i32 s10, s8, s1
	s_add_i32 s9, s11, s9
	s_mul_i32 s12, s7, s1
	s_add_i32 s9, s9, s10
	s_mul_hi_u32 s11, s1, s12
	s_mul_hi_u32 s13, s0, s12
	s_mul_i32 s10, s0, s12
	s_mul_hi_u32 s12, s1, s9
	s_mul_i32 s1, s1, s9
	s_mul_hi_u32 s14, s0, s9
	s_add_u32 s1, s11, s1
	s_addc_u32 s11, 0, s12
	s_add_u32 s1, s1, s10
	s_mul_i32 s9, s0, s9
	s_addc_u32 s1, s11, s13
	s_addc_u32 s10, s14, 0
	s_add_u32 s1, s1, s9
	s_addc_u32 s9, 0, s10
	v_add_co_u32 v33, s1, v33, s1
	s_delay_alu instid0(VALU_DEP_1) | instskip(SKIP_1) | instid1(VALU_DEP_1)
	s_cmp_lg_u32 s1, 0
	s_addc_u32 s0, s0, s9
	v_readfirstlane_b32 s1, v33
	s_mul_i32 s9, s7, s0
	s_delay_alu instid0(VALU_DEP_1)
	s_mul_hi_u32 s10, s7, s1
	s_mul_i32 s8, s8, s1
	s_add_i32 s9, s10, s9
	s_mul_i32 s7, s7, s1
	s_add_i32 s9, s9, s8
	s_mul_hi_u32 s10, s0, s7
	s_mul_i32 s11, s0, s7
	s_mul_hi_u32 s7, s1, s7
	s_mul_hi_u32 s12, s1, s9
	s_mul_i32 s1, s1, s9
	s_mul_hi_u32 s8, s0, s9
	s_add_u32 s1, s7, s1
	s_addc_u32 s7, 0, s12
	s_add_u32 s1, s1, s11
	s_mul_i32 s9, s0, s9
	s_addc_u32 s1, s7, s10
	s_addc_u32 s7, s8, 0
	s_add_u32 s1, s1, s9
	s_addc_u32 s7, 0, s7
	v_add_co_u32 v33, s1, v33, s1
	s_delay_alu instid0(VALU_DEP_1) | instskip(SKIP_1) | instid1(VALU_DEP_1)
	s_cmp_lg_u32 s1, 0
	s_addc_u32 s0, s0, s7
	v_readfirstlane_b32 s1, v33
	s_mul_i32 s8, s4, s0
	s_mul_hi_u32 s7, s4, s0
	s_mul_hi_u32 s9, s5, s0
	s_mul_i32 s0, s5, s0
	s_mul_hi_u32 s10, s4, s1
	s_mul_hi_u32 s11, s5, s1
	s_mul_i32 s1, s5, s1
	s_add_u32 s8, s10, s8
	s_addc_u32 s7, 0, s7
	s_add_u32 s1, s8, s1
	s_addc_u32 s1, s7, s11
	s_addc_u32 s7, s9, 0
	s_add_u32 s1, s1, s0
	s_addc_u32 s7, 0, s7
	s_mul_hi_u32 s0, s38, s1
	s_mul_i32 s9, s38, s7
	s_mul_i32 s10, s38, s1
	s_add_i32 s0, s0, s9
	v_sub_co_u32 v33, s9, s4, s10
	s_mul_i32 s8, s39, s1
	s_delay_alu instid0(SALU_CYCLE_1) | instskip(NEXT) | instid1(VALU_DEP_1)
	s_add_i32 s0, s0, s8
	v_sub_co_u32 v34, s10, v33, s38
	s_sub_i32 s8, s5, s0
	s_cmp_lg_u32 s9, 0
	s_subb_u32 s8, s8, s39
	s_cmp_lg_u32 s10, 0
	v_cmp_le_u32_e32 vcc_lo, s38, v34
	s_subb_u32 s8, s8, 0
	s_delay_alu instid0(SALU_CYCLE_1)
	s_cmp_ge_u32 s8, s39
	v_cndmask_b32_e64 v34, 0, -1, vcc_lo
	s_cselect_b32 s10, -1, 0
	s_cmp_eq_u32 s8, s39
	s_cselect_b32 vcc_lo, -1, 0
	s_add_u32 s8, s1, 1
	v_cndmask_b32_e32 v34, s10, v34, vcc_lo
	s_addc_u32 s10, s7, 0
	s_add_u32 s11, s1, 2
	s_addc_u32 s12, s7, 0
	s_cmp_lg_u32 s9, 0
	v_cmp_le_u32_e32 vcc_lo, s38, v33
	s_subb_u32 s0, s5, s0
	v_mov_b32_e32 v52, s11
	s_cmp_ge_u32 s0, s39
	v_cndmask_b32_e64 v33, 0, -1, vcc_lo
	s_cselect_b32 s5, -1, 0
	s_cmp_eq_u32 s0, s39
	v_cmp_ne_u32_e32 vcc_lo, 0, v34
	v_mov_b32_e32 v34, s12
	s_cselect_b32 s0, -1, 0
	s_delay_alu instid0(SALU_CYCLE_1) | instskip(SKIP_1) | instid1(VALU_DEP_3)
	v_cndmask_b32_e64 v33, s5, v33, s0
	v_cndmask_b32_e32 v52, s8, v52, vcc_lo
	v_cndmask_b32_e32 v34, s10, v34, vcc_lo
	s_delay_alu instid0(VALU_DEP_3) | instskip(NEXT) | instid1(VALU_DEP_2)
	v_cmp_ne_u32_e32 vcc_lo, 0, v33
	v_cndmask_b32_e32 v34, s7, v34, vcc_lo
	s_delay_alu instid0(VALU_DEP_4)
	v_cndmask_b32_e32 v33, s1, v52, vcc_lo
	s_and_not1_b32 vcc_lo, exec_lo, s6
	s_cbranch_vccnz .LBB43_250
.LBB43_249:
	v_cvt_f32_u32_e32 v33, s38
	s_sub_i32 s1, 0, s38
	s_delay_alu instid0(VALU_DEP_1) | instskip(SKIP_2) | instid1(VALU_DEP_1)
	v_rcp_iflag_f32_e32 v33, v33
	s_waitcnt_depctr 0xfff
	v_mul_f32_e32 v33, 0x4f7ffffe, v33
	v_cvt_u32_f32_e32 v33, v33
	s_delay_alu instid0(VALU_DEP_1) | instskip(NEXT) | instid1(VALU_DEP_1)
	v_readfirstlane_b32 s0, v33
	s_mul_i32 s1, s1, s0
	s_delay_alu instid0(SALU_CYCLE_1) | instskip(NEXT) | instid1(SALU_CYCLE_1)
	s_mul_hi_u32 s1, s0, s1
	s_add_i32 s0, s0, s1
	s_delay_alu instid0(SALU_CYCLE_1) | instskip(NEXT) | instid1(SALU_CYCLE_1)
	s_mul_hi_u32 s0, s4, s0
	s_mul_i32 s1, s0, s38
	s_delay_alu instid0(SALU_CYCLE_1)
	s_sub_i32 s1, s4, s1
	s_add_i32 s4, s0, 1
	s_sub_i32 s5, s1, s38
	s_cmp_ge_u32 s1, s38
	s_cselect_b32 s0, s4, s0
	s_cselect_b32 s1, s5, s1
	s_add_i32 s4, s0, 1
	s_cmp_ge_u32 s1, s38
	s_mov_b32 s1, 0
	s_cselect_b32 s0, s4, s0
	s_delay_alu instid0(SALU_CYCLE_1)
	v_dual_mov_b32 v34, s1 :: v_dual_mov_b32 v33, s0
.LBB43_250:
	s_cbranch_execnz .LBB43_254
.LBB43_251:
	s_or_b64 s[4:5], s[40:41], s[38:39]
	s_mov_b32 s4, 0
	s_delay_alu instid0(SALU_CYCLE_1)
	s_cmp_lg_u64 s[4:5], 0
	s_cbranch_scc0 .LBB43_348
; %bb.252:
	v_cvt_f32_u32_e32 v33, s38
	v_cvt_f32_u32_e32 v34, s39
	s_sub_u32 s5, 0, s38
	s_subb_u32 s6, 0, s39
	s_delay_alu instid0(VALU_DEP_1) | instskip(NEXT) | instid1(VALU_DEP_1)
	v_fmamk_f32 v33, v34, 0x4f800000, v33
	v_rcp_f32_e32 v33, v33
	s_waitcnt_depctr 0xfff
	v_mul_f32_e32 v33, 0x5f7ffffc, v33
	s_delay_alu instid0(VALU_DEP_1) | instskip(NEXT) | instid1(VALU_DEP_1)
	v_mul_f32_e32 v34, 0x2f800000, v33
	v_trunc_f32_e32 v34, v34
	s_delay_alu instid0(VALU_DEP_1) | instskip(SKIP_1) | instid1(VALU_DEP_2)
	v_fmamk_f32 v33, v34, 0xcf800000, v33
	v_cvt_u32_f32_e32 v34, v34
	v_cvt_u32_f32_e32 v33, v33
	s_delay_alu instid0(VALU_DEP_2) | instskip(NEXT) | instid1(VALU_DEP_2)
	v_readfirstlane_b32 s0, v34
	v_readfirstlane_b32 s1, v33
	s_delay_alu instid0(VALU_DEP_2) | instskip(NEXT) | instid1(VALU_DEP_1)
	s_mul_i32 s7, s5, s0
	s_mul_hi_u32 s9, s5, s1
	s_mul_i32 s8, s6, s1
	s_add_i32 s7, s9, s7
	s_mul_i32 s10, s5, s1
	s_add_i32 s7, s7, s8
	s_mul_hi_u32 s9, s1, s10
	s_mul_hi_u32 s11, s0, s10
	s_mul_i32 s8, s0, s10
	s_mul_hi_u32 s10, s1, s7
	s_mul_i32 s1, s1, s7
	s_mul_hi_u32 s12, s0, s7
	s_add_u32 s1, s9, s1
	s_addc_u32 s9, 0, s10
	s_add_u32 s1, s1, s8
	s_mul_i32 s7, s0, s7
	s_addc_u32 s1, s9, s11
	s_addc_u32 s8, s12, 0
	s_add_u32 s1, s1, s7
	s_addc_u32 s7, 0, s8
	v_add_co_u32 v33, s1, v33, s1
	s_delay_alu instid0(VALU_DEP_1) | instskip(SKIP_1) | instid1(VALU_DEP_1)
	s_cmp_lg_u32 s1, 0
	s_addc_u32 s0, s0, s7
	v_readfirstlane_b32 s1, v33
	s_mul_i32 s7, s5, s0
	s_delay_alu instid0(VALU_DEP_1)
	s_mul_hi_u32 s8, s5, s1
	s_mul_i32 s6, s6, s1
	s_add_i32 s7, s8, s7
	s_mul_i32 s5, s5, s1
	s_add_i32 s7, s7, s6
	s_mul_hi_u32 s8, s0, s5
	s_mul_i32 s9, s0, s5
	s_mul_hi_u32 s5, s1, s5
	s_mul_hi_u32 s10, s1, s7
	s_mul_i32 s1, s1, s7
	s_mul_hi_u32 s6, s0, s7
	s_add_u32 s1, s5, s1
	s_addc_u32 s5, 0, s10
	s_add_u32 s1, s1, s9
	s_mul_i32 s7, s0, s7
	s_addc_u32 s1, s5, s8
	s_addc_u32 s5, s6, 0
	s_add_u32 s1, s1, s7
	s_addc_u32 s5, 0, s5
	v_add_co_u32 v33, s1, v33, s1
	s_delay_alu instid0(VALU_DEP_1) | instskip(SKIP_1) | instid1(VALU_DEP_1)
	s_cmp_lg_u32 s1, 0
	s_addc_u32 s0, s0, s5
	v_readfirstlane_b32 s1, v33
	s_mul_i32 s6, s40, s0
	s_mul_hi_u32 s5, s40, s0
	s_mul_hi_u32 s7, s41, s0
	s_mul_i32 s0, s41, s0
	s_mul_hi_u32 s8, s40, s1
	s_mul_hi_u32 s9, s41, s1
	s_mul_i32 s1, s41, s1
	s_add_u32 s6, s8, s6
	s_addc_u32 s5, 0, s5
	s_add_u32 s1, s6, s1
	s_addc_u32 s1, s5, s9
	s_addc_u32 s5, s7, 0
	s_add_u32 s1, s1, s0
	s_addc_u32 s5, 0, s5
	s_mul_hi_u32 s0, s38, s1
	s_mul_i32 s7, s38, s5
	s_mul_i32 s8, s38, s1
	s_add_i32 s0, s0, s7
	v_sub_co_u32 v33, s7, s40, s8
	s_mul_i32 s6, s39, s1
	s_delay_alu instid0(SALU_CYCLE_1) | instskip(NEXT) | instid1(VALU_DEP_1)
	s_add_i32 s0, s0, s6
	v_sub_co_u32 v34, s8, v33, s38
	s_sub_i32 s6, s41, s0
	s_cmp_lg_u32 s7, 0
	s_subb_u32 s6, s6, s39
	s_cmp_lg_u32 s8, 0
	v_cmp_le_u32_e32 vcc_lo, s38, v34
	s_subb_u32 s6, s6, 0
	s_delay_alu instid0(SALU_CYCLE_1)
	s_cmp_ge_u32 s6, s39
	v_cndmask_b32_e64 v34, 0, -1, vcc_lo
	s_cselect_b32 s8, -1, 0
	s_cmp_eq_u32 s6, s39
	s_cselect_b32 vcc_lo, -1, 0
	s_add_u32 s6, s1, 1
	v_cndmask_b32_e32 v34, s8, v34, vcc_lo
	s_addc_u32 s8, s5, 0
	s_add_u32 s9, s1, 2
	s_addc_u32 s10, s5, 0
	s_cmp_lg_u32 s7, 0
	v_cmp_le_u32_e32 vcc_lo, s38, v33
	s_subb_u32 s0, s41, s0
	v_mov_b32_e32 v52, s9
	s_cmp_ge_u32 s0, s39
	v_cndmask_b32_e64 v33, 0, -1, vcc_lo
	s_cselect_b32 s7, -1, 0
	s_cmp_eq_u32 s0, s39
	v_cmp_ne_u32_e32 vcc_lo, 0, v34
	v_mov_b32_e32 v34, s10
	s_cselect_b32 s0, -1, 0
	s_delay_alu instid0(SALU_CYCLE_1) | instskip(SKIP_1) | instid1(VALU_DEP_3)
	v_cndmask_b32_e64 v33, s7, v33, s0
	v_cndmask_b32_e32 v52, s6, v52, vcc_lo
	v_cndmask_b32_e32 v34, s8, v34, vcc_lo
	s_delay_alu instid0(VALU_DEP_3) | instskip(NEXT) | instid1(VALU_DEP_2)
	v_cmp_ne_u32_e32 vcc_lo, 0, v33
	v_cndmask_b32_e32 v34, s5, v34, vcc_lo
	s_delay_alu instid0(VALU_DEP_4)
	v_cndmask_b32_e32 v33, s1, v52, vcc_lo
	s_and_not1_b32 vcc_lo, exec_lo, s4
	s_cbranch_vccnz .LBB43_254
.LBB43_253:
	v_cvt_f32_u32_e32 v33, s38
	s_sub_i32 s1, 0, s38
	s_delay_alu instid0(VALU_DEP_1) | instskip(SKIP_2) | instid1(VALU_DEP_1)
	v_rcp_iflag_f32_e32 v33, v33
	s_waitcnt_depctr 0xfff
	v_mul_f32_e32 v33, 0x4f7ffffe, v33
	v_cvt_u32_f32_e32 v33, v33
	s_delay_alu instid0(VALU_DEP_1) | instskip(NEXT) | instid1(VALU_DEP_1)
	v_readfirstlane_b32 s0, v33
	s_mul_i32 s1, s1, s0
	s_delay_alu instid0(SALU_CYCLE_1) | instskip(NEXT) | instid1(SALU_CYCLE_1)
	s_mul_hi_u32 s1, s0, s1
	s_add_i32 s0, s0, s1
	s_delay_alu instid0(SALU_CYCLE_1) | instskip(NEXT) | instid1(SALU_CYCLE_1)
	s_mul_hi_u32 s0, s40, s0
	s_mul_i32 s1, s0, s38
	s_add_i32 s4, s0, 1
	s_sub_i32 s1, s40, s1
	s_delay_alu instid0(SALU_CYCLE_1)
	s_sub_i32 s5, s1, s38
	s_cmp_ge_u32 s1, s38
	s_cselect_b32 s0, s4, s0
	s_cselect_b32 s1, s5, s1
	s_add_i32 s4, s0, 1
	s_cmp_ge_u32 s1, s38
	s_mov_b32 s1, 0
	s_cselect_b32 s0, s4, s0
	s_delay_alu instid0(SALU_CYCLE_1)
	v_dual_mov_b32 v34, s1 :: v_dual_mov_b32 v33, s0
.LBB43_254:
	v_lshlrev_b32_e32 v52, 3, v0
	s_waitcnt lgkmcnt(0)
	ds_store_b64 v52, v[7:8] offset:33792
	s_waitcnt lgkmcnt(0)
	s_barrier
	buffer_gl0_inv
	s_and_saveexec_b32 s0, s3
	s_cbranch_execz .LBB43_256
; %bb.255:
	ds_load_b64 v[33:34], v52 offset:33784
.LBB43_256:
	s_or_b32 exec_lo, exec_lo, s0
	v_lshlrev_b32_e32 v52, 2, v0
	s_waitcnt lgkmcnt(0)
	s_barrier
	buffer_gl0_inv
	v_lshlrev_b32_e32 v69, 2, v38
	v_add_co_u32 v52, s0, s33, v52
	s_delay_alu instid0(VALU_DEP_1) | instskip(SKIP_1) | instid1(VALU_DEP_3)
	v_add_co_ci_u32_e64 v53, null, s50, 0, s0
	v_cmp_ne_u64_e64 s0, v[5:6], v[7:8]
	v_add_co_u32 v54, vcc_lo, 0x1000, v52
	s_delay_alu instid0(VALU_DEP_3)
	v_add_co_ci_u32_e32 v55, vcc_lo, 0, v53, vcc_lo
	s_clause 0x7
	flat_load_b32 v56, v[52:53]
	flat_load_b32 v57, v[52:53] offset:1024
	flat_load_b32 v58, v[52:53] offset:2048
	;; [unrolled: 1-line block ×3, first 2 shown]
	flat_load_b32 v60, v[54:55]
	flat_load_b32 v61, v[54:55] offset:1024
	flat_load_b32 v62, v[54:55] offset:2048
	;; [unrolled: 1-line block ×3, first 2 shown]
	v_add_co_u32 v54, vcc_lo, 0x2000, v52
	v_add_co_ci_u32_e32 v55, vcc_lo, 0, v53, vcc_lo
	v_add_co_u32 v52, vcc_lo, 0x3000, v52
	v_add_co_ci_u32_e32 v53, vcc_lo, 0, v53, vcc_lo
	s_clause 0x7
	flat_load_b32 v64, v[54:55]
	flat_load_b32 v65, v[54:55] offset:1024
	flat_load_b32 v66, v[54:55] offset:2048
	;; [unrolled: 1-line block ×3, first 2 shown]
	flat_load_b32 v55, v[52:53]
	flat_load_b32 v67, v[52:53] offset:1024
	flat_load_b32 v68, v[52:53] offset:2048
	;; [unrolled: 1-line block ×3, first 2 shown]
	v_cmp_ne_u64_e32 vcc_lo, v[33:34], v[29:30]
	v_lshlrev_b32_e32 v8, 2, v36
	v_lshlrev_b32_e32 v7, 2, v35
	v_lshlrev_b32_e32 v35, 2, v40
	v_lshlrev_b32_e32 v71, 2, v42
	v_lshlrev_b32_e32 v70, 2, v44
	v_cndmask_b32_e64 v36, 0, 1, vcc_lo
	v_cmp_ne_u64_e32 vcc_lo, v[29:30], v[31:32]
	v_lshlrev_b32_e32 v72, 2, v46
	v_lshlrev_b32_e32 v73, 2, v48
	v_lshlrev_b32_e32 v74, 2, v50
	v_lshlrev_b32_e32 v37, 2, v37
	v_lshlrev_b32_e32 v39, 2, v39
	v_cndmask_b32_e64 v38, 0, 1, vcc_lo
	;; [unrolled: 7-line block ×3, first 2 shown]
	v_cmp_ne_u64_e32 vcc_lo, v[25:26], v[27:28]
	v_lshlrev_b32_e32 v51, 2, v51
	s_mov_b32 s1, -1
                                        ; implicit-def: $sgpr4_sgpr5
	s_waitcnt vmcnt(15) lgkmcnt(15)
	ds_store_b32 v7, v56
	s_waitcnt vmcnt(14) lgkmcnt(15)
	ds_store_b32 v8, v57 offset:1024
	s_waitcnt vmcnt(13) lgkmcnt(15)
	ds_store_b32 v35, v58 offset:2048
	;; [unrolled: 2-line block ×15, first 2 shown]
	v_cndmask_b32_e64 v42, 0, 1, vcc_lo
	v_cmp_ne_u64_e32 vcc_lo, v[27:28], v[21:22]
	s_waitcnt lgkmcnt(0)
	s_barrier
	buffer_gl0_inv
	v_cndmask_b32_e64 v44, 0, 1, vcc_lo
	v_cmp_ne_u64_e32 vcc_lo, v[21:22], v[23:24]
	v_cndmask_b32_e64 v46, 0, 1, vcc_lo
	v_cmp_ne_u64_e32 vcc_lo, v[23:24], v[17:18]
	;; [unrolled: 2-line block ×3, first 2 shown]
	ds_load_2addr_b32 v[7:8], v74 offset1:1
	ds_load_2addr_b32 v[17:18], v74 offset0:2 offset1:3
	v_cndmask_b32_e64 v50, 0, 1, vcc_lo
	v_cmp_ne_u64_e32 vcc_lo, v[19:20], v[13:14]
	v_cndmask_b32_e64 v52, 0, 1, vcc_lo
	v_cmp_ne_u64_e32 vcc_lo, v[13:14], v[15:16]
	ds_load_2addr_b32 v[13:14], v74 offset0:4 offset1:5
	ds_load_2addr_b32 v[19:20], v74 offset0:6 offset1:7
	v_cndmask_b32_e64 v54, 0, 1, vcc_lo
	v_cmp_ne_u64_e32 vcc_lo, v[15:16], v[9:10]
	s_waitcnt lgkmcnt(3)
	v_mov_b32_e32 v35, v7
	v_mov_b32_e32 v37, v8
	s_waitcnt lgkmcnt(2)
	v_mov_b32_e32 v39, v17
	v_mov_b32_e32 v41, v18
	v_cndmask_b32_e64 v56, 0, 1, vcc_lo
	v_cmp_ne_u64_e32 vcc_lo, v[9:10], v[11:12]
	s_waitcnt lgkmcnt(1)
	v_mov_b32_e32 v43, v13
	ds_load_2addr_b32 v[15:16], v74 offset0:8 offset1:9
	ds_load_2addr_b32 v[21:22], v74 offset0:10 offset1:11
	;; [unrolled: 1-line block ×4, first 2 shown]
	v_cndmask_b32_e64 v58, 0, 1, vcc_lo
	v_cmp_ne_u64_e32 vcc_lo, v[11:12], v[1:2]
	v_mov_b32_e32 v45, v14
	s_waitcnt lgkmcnt(4)
	v_mov_b32_e32 v47, v19
	v_mov_b32_e32 v49, v20
	v_cndmask_b32_e64 v60, 0, 1, vcc_lo
	v_cmp_ne_u64_e32 vcc_lo, v[1:2], v[3:4]
	v_cndmask_b32_e64 v62, 0, 1, vcc_lo
	v_cmp_ne_u64_e32 vcc_lo, v[3:4], v[5:6]
	s_waitcnt lgkmcnt(3)
	v_mov_b32_e32 v51, v15
	v_mov_b32_e32 v53, v16
	s_waitcnt lgkmcnt(2)
	v_mov_b32_e32 v55, v21
	v_mov_b32_e32 v57, v22
	v_cndmask_b32_e64 v64, 0, 1, vcc_lo
	s_waitcnt lgkmcnt(1)
	v_mov_b32_e32 v59, v9
	v_mov_b32_e32 v61, v10
	s_waitcnt lgkmcnt(0)
	v_mov_b32_e32 v63, v65
.LBB43_257:
	v_dual_mov_b32 v7, s5 :: v_dual_mov_b32 v6, s4
	s_and_saveexec_b32 s4, s1
	s_cbranch_execz .LBB43_259
; %bb.258:
	v_cndmask_b32_e64 v7, 0, 1, s0
	s_waitcnt lgkmcnt(0)
	v_mov_b32_e32 v6, v66
.LBB43_259:
	s_or_b32 exec_lo, exec_lo, s4
	s_delay_alu instid0(VALU_DEP_1)
	v_or3_b32 v13, v7, v64, v62
	v_lshrrev_b32_e32 v12, 5, v0
	v_cmp_gt_u32_e32 vcc_lo, 32, v0
	s_cmp_lg_u32 s31, 0
	s_mov_b32 s16, 0
	s_waitcnt lgkmcnt(0)
	s_barrier
	buffer_gl0_inv
	s_cbranch_scc0 .LBB43_291
; %bb.260:
	s_mov_b32 s17, 1
	v_or3_b32 v2, v13, v60, v58
	v_cmp_gt_u64_e64 s0, s[16:17], v[37:38]
	v_cmp_gt_u64_e64 s1, s[16:17], v[39:40]
	;; [unrolled: 1-line block ×6, first 2 shown]
	v_cndmask_b32_e64 v1, 0, v35, s0
	v_cmp_gt_u64_e64 s8, s[16:17], v[49:50]
	v_cmp_gt_u64_e64 s9, s[16:17], v[51:52]
	;; [unrolled: 1-line block ×4, first 2 shown]
	v_add_nc_u32_e32 v1, v1, v37
	v_cmp_gt_u64_e64 s12, s[16:17], v[57:58]
	v_cmp_gt_u64_e64 s13, s[16:17], v[59:60]
	v_or3_b32 v2, v2, v56, v54
	v_cmp_gt_u64_e64 s14, s[16:17], v[61:62]
	v_cndmask_b32_e64 v1, 0, v1, s1
	v_cmp_gt_u64_e64 s15, s[16:17], v[63:64]
	v_cmp_gt_u64_e64 s16, s[16:17], v[6:7]
	v_or3_b32 v2, v2, v52, v50
	v_add_lshl_u32 v3, v12, v0, 3
	v_add_nc_u32_e32 v1, v1, v39
	s_delay_alu instid0(VALU_DEP_3) | instskip(NEXT) | instid1(VALU_DEP_2)
	v_or3_b32 v2, v2, v48, v46
	v_cndmask_b32_e64 v1, 0, v1, s4
	s_delay_alu instid0(VALU_DEP_2) | instskip(NEXT) | instid1(VALU_DEP_2)
	v_or3_b32 v2, v2, v44, v42
	v_add_nc_u32_e32 v1, v1, v41
	s_delay_alu instid0(VALU_DEP_2) | instskip(NEXT) | instid1(VALU_DEP_2)
	v_or3_b32 v2, v2, v40, v38
	v_cndmask_b32_e64 v1, 0, v1, s5
	s_delay_alu instid0(VALU_DEP_2) | instskip(NEXT) | instid1(VALU_DEP_2)
	v_and_b32_e32 v2, 1, v2
	v_add_nc_u32_e32 v1, v1, v43
	s_delay_alu instid0(VALU_DEP_2) | instskip(NEXT) | instid1(VALU_DEP_2)
	v_cmp_eq_u32_e64 s17, 1, v2
	v_cndmask_b32_e64 v1, 0, v1, s6
	s_delay_alu instid0(VALU_DEP_2) | instskip(NEXT) | instid1(VALU_DEP_2)
	v_cndmask_b32_e64 v15, v36, 1, s17
	v_add_nc_u32_e32 v1, v1, v45
	s_delay_alu instid0(VALU_DEP_1) | instskip(NEXT) | instid1(VALU_DEP_1)
	v_cndmask_b32_e64 v1, 0, v1, s7
	v_add_nc_u32_e32 v1, v1, v47
	s_delay_alu instid0(VALU_DEP_1) | instskip(NEXT) | instid1(VALU_DEP_1)
	;; [unrolled: 3-line block ×10, first 2 shown]
	v_cndmask_b32_e64 v1, 0, v1, s16
	v_add_nc_u32_e32 v14, v1, v6
	ds_store_b32 v3, v14
	ds_store_b8 v3, v15 offset:4
	s_waitcnt lgkmcnt(0)
	s_barrier
	buffer_gl0_inv
	s_and_saveexec_b32 s18, vcc_lo
	s_cbranch_execz .LBB43_270
; %bb.261:
	v_lshlrev_b32_e32 v1, 1, v0
	s_mov_b32 s19, exec_lo
	s_delay_alu instid0(VALU_DEP_1) | instskip(NEXT) | instid1(VALU_DEP_1)
	v_and_b32_e32 v1, 0x1f8, v1
	v_lshl_or_b32 v3, v0, 6, v1
	ds_load_u8 v10, v3 offset:12
	ds_load_b64 v[1:2], v3
	ds_load_u8 v11, v3 offset:20
	ds_load_2addr_b32 v[4:5], v3 offset0:2 offset1:4
	ds_load_u8 v16, v3 offset:28
	ds_load_u8 v17, v3 offset:36
	;; [unrolled: 1-line block ×4, first 2 shown]
	ds_load_b32 v20, v3 offset:56
	ds_load_u8 v21, v3 offset:60
	s_waitcnt lgkmcnt(9)
	v_and_b32_e32 v8, 0xff, v10
	s_waitcnt lgkmcnt(7)
	v_and_b32_e32 v23, 0xff, v11
	s_delay_alu instid0(VALU_DEP_2)
	v_cmp_eq_u16_e64 s17, 0, v8
	ds_load_2addr_b32 v[8:9], v3 offset0:6 offset1:8
	s_waitcnt lgkmcnt(5)
	v_and_b32_e32 v24, 0xff, v17
	v_cndmask_b32_e64 v22, 0, v1, s17
	v_cmp_eq_u16_e64 s17, 0, v23
	s_delay_alu instid0(VALU_DEP_2) | instskip(SKIP_1) | instid1(VALU_DEP_2)
	v_add_nc_u32_e32 v4, v22, v4
	v_and_b32_e32 v22, 0xff, v16
	v_cndmask_b32_e64 v4, 0, v4, s17
	s_delay_alu instid0(VALU_DEP_2) | instskip(NEXT) | instid1(VALU_DEP_2)
	v_cmp_eq_u16_e64 s17, 0, v22
	v_add_nc_u32_e32 v4, v4, v5
	s_waitcnt lgkmcnt(1)
	v_or_b32_e32 v5, v21, v19
	s_delay_alu instid0(VALU_DEP_2) | instskip(NEXT) | instid1(VALU_DEP_2)
	v_cndmask_b32_e64 v22, 0, v4, s17
	v_or_b32_e32 v23, v5, v18
	ds_load_2addr_b32 v[4:5], v3 offset0:10 offset1:12
	v_cmp_eq_u16_e64 s17, 0, v24
	s_waitcnt lgkmcnt(1)
	v_add_nc_u32_e32 v8, v22, v8
	v_or_b32_e32 v17, v23, v17
	s_delay_alu instid0(VALU_DEP_2) | instskip(NEXT) | instid1(VALU_DEP_2)
	v_cndmask_b32_e64 v8, 0, v8, s17
	v_or_b32_e32 v16, v17, v16
	v_and_b32_e32 v17, 0xff, v18
	s_delay_alu instid0(VALU_DEP_3) | instskip(NEXT) | instid1(VALU_DEP_3)
	v_add_nc_u32_e32 v8, v8, v9
	v_or_b32_e32 v9, v16, v11
	s_delay_alu instid0(VALU_DEP_3) | instskip(NEXT) | instid1(VALU_DEP_2)
	v_cmp_eq_u16_e64 s17, 0, v17
	v_or_b32_e32 v9, v9, v10
	s_delay_alu instid0(VALU_DEP_2) | instskip(SKIP_1) | instid1(VALU_DEP_3)
	v_cndmask_b32_e64 v8, 0, v8, s17
	v_and_b32_e32 v10, 0xff, v19
	v_and_b32_e32 v9, 1, v9
	s_waitcnt lgkmcnt(0)
	s_delay_alu instid0(VALU_DEP_3) | instskip(NEXT) | instid1(VALU_DEP_3)
	v_add_nc_u32_e32 v8, v8, v4
	v_cmp_eq_u16_e64 s17, 0, v10
	v_and_b32_e32 v4, 1, v2
	s_delay_alu instid0(VALU_DEP_2) | instskip(SKIP_2) | instid1(VALU_DEP_3)
	v_cndmask_b32_e64 v8, 0, v8, s17
	v_cmp_eq_u32_e64 s17, 1, v9
	v_mbcnt_lo_u32_b32 v9, -1, 0
	v_add_nc_u32_e32 v8, v8, v5
	s_delay_alu instid0(VALU_DEP_3) | instskip(SKIP_2) | instid1(VALU_DEP_3)
	v_cndmask_b32_e64 v10, v4, 1, s17
	v_cmp_eq_u16_e64 s17, 0, v21
	v_and_b32_e32 v5, 0xffffff00, v2
	v_and_b32_e32 v11, 0xffff, v10
	s_delay_alu instid0(VALU_DEP_3) | instskip(NEXT) | instid1(VALU_DEP_2)
	v_cndmask_b32_e64 v8, 0, v8, s17
	v_or_b32_e32 v16, v5, v11
	s_delay_alu instid0(VALU_DEP_2) | instskip(SKIP_1) | instid1(VALU_DEP_3)
	v_add_nc_u32_e32 v8, v8, v20
	v_and_b32_e32 v11, 15, v9
	v_mov_b32_dpp v18, v16 row_shr:1 row_mask:0xf bank_mask:0xf
	s_delay_alu instid0(VALU_DEP_3) | instskip(NEXT) | instid1(VALU_DEP_3)
	v_mov_b32_dpp v17, v8 row_shr:1 row_mask:0xf bank_mask:0xf
	v_cmpx_ne_u32_e32 0, v11
; %bb.262:
	v_and_b32_e32 v16, 1, v10
	s_delay_alu instid0(VALU_DEP_4) | instskip(NEXT) | instid1(VALU_DEP_2)
	v_and_b32_e32 v18, 1, v18
	v_cmp_eq_u32_e64 s17, 1, v16
	s_delay_alu instid0(VALU_DEP_1) | instskip(SKIP_1) | instid1(VALU_DEP_2)
	v_cndmask_b32_e64 v18, v18, 1, s17
	v_cmp_eq_u16_e64 s17, 0, v10
	v_and_b32_e32 v16, 0xffff, v18
	s_delay_alu instid0(VALU_DEP_2) | instskip(NEXT) | instid1(VALU_DEP_2)
	v_cndmask_b32_e64 v10, 0, v17, s17
	v_or_b32_e32 v16, v5, v16
	s_delay_alu instid0(VALU_DEP_2)
	v_add_nc_u32_e32 v8, v10, v8
	v_mov_b32_e32 v10, v18
; %bb.263:
	s_or_b32 exec_lo, exec_lo, s19
	s_delay_alu instid0(VALU_DEP_2)
	v_mov_b32_dpp v17, v8 row_shr:2 row_mask:0xf bank_mask:0xf
	v_mov_b32_dpp v18, v16 row_shr:2 row_mask:0xf bank_mask:0xf
	s_mov_b32 s19, exec_lo
	v_cmpx_lt_u32_e32 1, v11
; %bb.264:
	v_and_b32_e32 v16, 1, v10
	s_delay_alu instid0(VALU_DEP_3) | instskip(NEXT) | instid1(VALU_DEP_2)
	v_and_b32_e32 v18, 1, v18
	v_cmp_eq_u32_e64 s17, 1, v16
	s_delay_alu instid0(VALU_DEP_1) | instskip(SKIP_1) | instid1(VALU_DEP_2)
	v_cndmask_b32_e64 v18, v18, 1, s17
	v_cmp_eq_u16_e64 s17, 0, v10
	v_and_b32_e32 v16, 0xffff, v18
	s_delay_alu instid0(VALU_DEP_2) | instskip(NEXT) | instid1(VALU_DEP_2)
	v_cndmask_b32_e64 v10, 0, v17, s17
	v_or_b32_e32 v16, v5, v16
	s_delay_alu instid0(VALU_DEP_2)
	v_add_nc_u32_e32 v8, v10, v8
	v_mov_b32_e32 v10, v18
; %bb.265:
	s_or_b32 exec_lo, exec_lo, s19
	s_delay_alu instid0(VALU_DEP_2)
	v_mov_b32_dpp v17, v8 row_shr:4 row_mask:0xf bank_mask:0xf
	v_mov_b32_dpp v18, v16 row_shr:4 row_mask:0xf bank_mask:0xf
	s_mov_b32 s19, exec_lo
	v_cmpx_lt_u32_e32 3, v11
; %bb.266:
	v_and_b32_e32 v16, 1, v10
	s_delay_alu instid0(VALU_DEP_3) | instskip(NEXT) | instid1(VALU_DEP_2)
	;; [unrolled: 22-line block ×3, first 2 shown]
	v_and_b32_e32 v16, 1, v18
	v_cmp_eq_u32_e64 s17, 1, v11
	s_delay_alu instid0(VALU_DEP_1) | instskip(SKIP_1) | instid1(VALU_DEP_2)
	v_cndmask_b32_e64 v11, v16, 1, s17
	v_cmp_eq_u16_e64 s17, 0, v10
	v_and_b32_e32 v16, 0xffff, v11
	s_delay_alu instid0(VALU_DEP_2) | instskip(NEXT) | instid1(VALU_DEP_2)
	v_cndmask_b32_e64 v10, 0, v17, s17
	v_or_b32_e32 v16, v5, v16
	s_delay_alu instid0(VALU_DEP_2)
	v_add_nc_u32_e32 v8, v10, v8
	v_mov_b32_e32 v10, v11
; %bb.269:
	s_or_b32 exec_lo, exec_lo, s19
	ds_swizzle_b32 v11, v16 offset:swizzle(BROADCAST,32,15)
	ds_swizzle_b32 v16, v8 offset:swizzle(BROADCAST,32,15)
	v_and_b32_e32 v17, 1, v10
	v_and_b32_e32 v18, 16, v9
	v_bfe_i32 v19, v9, 4, 1
	v_and_b32_e32 v2, 0xff, v2
	s_delay_alu instid0(VALU_DEP_4) | instskip(SKIP_3) | instid1(VALU_DEP_1)
	v_cmp_eq_u32_e64 s17, 1, v17
	v_add_nc_u32_e32 v17, -1, v9
	; wave barrier
	s_waitcnt lgkmcnt(1)
	v_and_b32_e32 v11, 1, v11
	v_cndmask_b32_e64 v11, v11, 1, s17
	v_cmp_eq_u16_e64 s17, 0, v10
	s_waitcnt lgkmcnt(0)
	s_delay_alu instid0(VALU_DEP_1) | instskip(SKIP_1) | instid1(VALU_DEP_1)
	v_cndmask_b32_e64 v16, 0, v16, s17
	v_cmp_eq_u32_e64 s17, 0, v18
	v_cndmask_b32_e64 v10, v11, v10, s17
	v_cmp_gt_i32_e64 s17, 0, v17
	s_delay_alu instid0(VALU_DEP_4) | instskip(NEXT) | instid1(VALU_DEP_3)
	v_and_b32_e32 v11, v19, v16
	v_and_b32_e32 v10, 0xffff, v10
	s_delay_alu instid0(VALU_DEP_3) | instskip(NEXT) | instid1(VALU_DEP_3)
	v_cndmask_b32_e64 v9, v17, v9, s17
	v_add_nc_u32_e32 v8, v11, v8
	v_cmp_eq_u16_e64 s17, 0, v2
	s_delay_alu instid0(VALU_DEP_4) | instskip(NEXT) | instid1(VALU_DEP_4)
	v_or_b32_e32 v5, v5, v10
	v_lshlrev_b32_e32 v9, 2, v9
	ds_bpermute_b32 v8, v9, v8
	ds_bpermute_b32 v5, v9, v5
	s_waitcnt lgkmcnt(1)
	v_cndmask_b32_e64 v2, 0, v8, s17
	s_waitcnt lgkmcnt(0)
	v_and_b32_e32 v5, 1, v5
	v_cmp_eq_u32_e64 s17, 1, v4
	s_delay_alu instid0(VALU_DEP_3) | instskip(NEXT) | instid1(VALU_DEP_2)
	v_add_nc_u32_e32 v1, v2, v1
	v_cndmask_b32_e64 v2, v5, 1, s17
	s_delay_alu instid0(VALU_DEP_2) | instskip(NEXT) | instid1(VALU_DEP_2)
	v_cndmask_b32_e64 v4, v1, v14, s2
	v_cndmask_b32_e64 v8, v2, v15, s2
	ds_store_b32 v3, v4
	ds_store_b8 v3, v8 offset:4
	; wave barrier
	ds_load_u8 v9, v3 offset:12
	ds_load_2addr_b32 v[1:2], v3 offset0:2 offset1:4
	ds_load_u8 v10, v3 offset:20
	ds_load_u8 v11, v3 offset:28
	;; [unrolled: 1-line block ×5, first 2 shown]
	ds_load_b32 v19, v3 offset:56
	ds_load_u8 v20, v3 offset:60
	s_waitcnt lgkmcnt(8)
	v_cmp_eq_u16_e64 s17, 0, v9
	v_and_b32_e32 v9, 1, v9
	s_delay_alu instid0(VALU_DEP_2)
	v_cndmask_b32_e64 v21, 0, v4, s17
	ds_load_2addr_b32 v[4:5], v3 offset0:6 offset1:8
	s_waitcnt lgkmcnt(7)
	v_cmp_eq_u16_e64 s17, 0, v10
	v_and_b32_e32 v10, 1, v10
	v_add_nc_u32_e32 v21, v21, v1
	s_delay_alu instid0(VALU_DEP_1) | instskip(SKIP_2) | instid1(VALU_DEP_2)
	v_cndmask_b32_e64 v1, 0, v21, s17
	s_waitcnt lgkmcnt(6)
	v_cmp_eq_u16_e64 s17, 0, v11
	v_add_nc_u32_e32 v22, v1, v2
	ds_load_2addr_b32 v[1:2], v3 offset0:10 offset1:12
	v_cndmask_b32_e64 v23, 0, v22, s17
	s_waitcnt lgkmcnt(6)
	v_cmp_eq_u16_e64 s17, 0, v16
	ds_store_2addr_b32 v3, v21, v22 offset0:2 offset1:4
	s_waitcnt lgkmcnt(2)
	v_add_nc_u32_e32 v4, v23, v4
	s_delay_alu instid0(VALU_DEP_1) | instskip(SKIP_3) | instid1(VALU_DEP_4)
	v_cndmask_b32_e64 v23, 0, v4, s17
	v_cmp_eq_u32_e64 s17, 1, v9
	v_and_b32_e32 v9, 1, v11
	v_and_b32_e32 v11, 1, v16
	v_add_nc_u32_e32 v5, v23, v5
	s_delay_alu instid0(VALU_DEP_4) | instskip(SKIP_2) | instid1(VALU_DEP_2)
	v_cndmask_b32_e64 v8, v8, 1, s17
	v_cmp_eq_u32_e64 s17, 1, v10
	v_and_b32_e32 v23, 1, v20
	v_cndmask_b32_e64 v10, v8, 1, s17
	v_cmp_eq_u16_e64 s17, 0, v17
	v_and_b32_e32 v17, 1, v17
	s_delay_alu instid0(VALU_DEP_2) | instskip(SKIP_2) | instid1(VALU_DEP_2)
	v_cndmask_b32_e64 v16, 0, v5, s17
	v_cmp_eq_u32_e64 s17, 1, v9
	s_waitcnt lgkmcnt(1)
	v_add_nc_u32_e32 v1, v16, v1
	s_delay_alu instid0(VALU_DEP_2) | instskip(SKIP_2) | instid1(VALU_DEP_2)
	v_cndmask_b32_e64 v9, v10, 1, s17
	v_cmp_eq_u32_e64 s17, 1, v11
	v_and_b32_e32 v16, 1, v18
	v_cndmask_b32_e64 v11, v9, 1, s17
	v_cmp_eq_u16_e64 s17, 0, v18
	s_delay_alu instid0(VALU_DEP_1) | instskip(SKIP_1) | instid1(VALU_DEP_2)
	v_cndmask_b32_e64 v18, 0, v1, s17
	v_cmp_eq_u32_e64 s17, 1, v17
	v_add_nc_u32_e32 v2, v18, v2
	s_delay_alu instid0(VALU_DEP_2)
	v_cndmask_b32_e64 v17, v11, 1, s17
	v_cmp_eq_u32_e64 s17, 1, v16
	ds_store_2addr_b32 v3, v4, v5 offset0:6 offset1:8
	ds_store_2addr_b32 v3, v1, v2 offset0:10 offset1:12
	v_cndmask_b32_e64 v16, v17, 1, s17
	v_cmp_eq_u16_e64 s17, 0, v20
	s_delay_alu instid0(VALU_DEP_1) | instskip(SKIP_1) | instid1(VALU_DEP_2)
	v_cndmask_b32_e64 v18, 0, v2, s17
	v_cmp_eq_u32_e64 s17, 1, v23
	v_add_nc_u32_e32 v1, v18, v19
	s_delay_alu instid0(VALU_DEP_2)
	v_cndmask_b32_e64 v20, v16, 1, s17
	ds_store_b8 v3, v8 offset:12
	ds_store_b8 v3, v10 offset:20
	;; [unrolled: 1-line block ×6, first 2 shown]
	ds_store_b32 v3, v1 offset:56
	ds_store_b8 v3, v20 offset:60
.LBB43_270:
	s_or_b32 exec_lo, exec_lo, s18
	s_waitcnt lgkmcnt(0)
	s_barrier
	buffer_gl0_inv
	s_and_saveexec_b32 s17, s3
	s_cbranch_execz .LBB43_272
; %bb.271:
	v_add_nc_u32_e32 v1, -1, v0
	s_delay_alu instid0(VALU_DEP_1) | instskip(NEXT) | instid1(VALU_DEP_1)
	v_lshrrev_b32_e32 v2, 5, v1
	v_add_lshl_u32 v1, v2, v1, 3
	ds_load_b32 v14, v1
	ds_load_u8 v15, v1 offset:4
.LBB43_272:
	s_or_b32 exec_lo, exec_lo, s17
	s_and_saveexec_b32 s33, vcc_lo
	s_cbranch_execz .LBB43_290
; %bb.273:
	v_mov_b32_e32 v4, 0
	v_mbcnt_lo_u32_b32 v16, -1, 0
	s_mov_b32 s19, 0
	ds_load_b64 v[1:2], v4 offset:2096
	v_cmp_eq_u32_e64 s17, 0, v16
	s_waitcnt lgkmcnt(0)
	v_readfirstlane_b32 s38, v2
	s_delay_alu instid0(VALU_DEP_2)
	s_and_saveexec_b32 s26, s17
	s_cbranch_execz .LBB43_275
; %bb.274:
	s_add_i32 s18, s31, 32
	s_mov_b32 s42, s19
	s_lshl_b64 s[40:41], s[18:19], 4
	s_mov_b32 s46, s19
	s_add_u32 s40, s28, s40
	s_addc_u32 s41, s29, s41
	s_and_b32 s43, s38, 0xff000000
	s_and_b32 s47, s38, 0xff0000
	v_dual_mov_b32 v8, s40 :: v_dual_mov_b32 v9, s41
	s_or_b64 s[42:43], s[46:47], s[42:43]
	s_and_b32 s47, s38, 0xff00
	v_mov_b32_e32 v3, 1
	s_or_b64 s[42:43], s[42:43], s[46:47]
	s_and_b32 s47, s38, 0xff
	s_delay_alu instid0(SALU_CYCLE_1) | instskip(NEXT) | instid1(SALU_CYCLE_1)
	s_or_b64 s[42:43], s[42:43], s[46:47]
	v_mov_b32_e32 v2, s43
	;;#ASMSTART
	global_store_dwordx4 v[8:9], v[1:4] off	
s_waitcnt vmcnt(0)
	;;#ASMEND
.LBB43_275:
	s_or_b32 exec_lo, exec_lo, s26
	v_xad_u32 v8, v16, -1, s31
	s_mov_b32 s18, exec_lo
	s_delay_alu instid0(VALU_DEP_1) | instskip(NEXT) | instid1(VALU_DEP_1)
	v_add_nc_u32_e32 v3, 32, v8
	v_lshlrev_b64 v[2:3], 4, v[3:4]
	s_delay_alu instid0(VALU_DEP_1) | instskip(NEXT) | instid1(VALU_DEP_2)
	v_add_co_u32 v9, vcc_lo, s28, v2
	v_add_co_ci_u32_e32 v10, vcc_lo, s29, v3, vcc_lo
	;;#ASMSTART
	global_load_dwordx4 v[2:5], v[9:10] off glc	
s_waitcnt vmcnt(0)
	;;#ASMEND
	v_and_b32_e32 v5, 0xffff, v2
	v_and_b32_e32 v11, 0xff0000, v2
	;; [unrolled: 1-line block ×4, first 2 shown]
	s_delay_alu instid0(VALU_DEP_3) | instskip(SKIP_1) | instid1(VALU_DEP_3)
	v_or_b32_e32 v5, v5, v11
	v_and_b32_e32 v11, 0xff, v4
	v_or3_b32 v3, 0, 0, v3
	s_delay_alu instid0(VALU_DEP_3) | instskip(NEXT) | instid1(VALU_DEP_3)
	v_or3_b32 v2, v5, v2, 0
	v_cmpx_eq_u16_e32 0, v11
	s_cbranch_execz .LBB43_278
.LBB43_276:                             ; =>This Inner Loop Header: Depth=1
	;;#ASMSTART
	global_load_dwordx4 v[2:5], v[9:10] off glc	
s_waitcnt vmcnt(0)
	;;#ASMEND
	v_and_b32_e32 v5, 0xff, v4
	s_delay_alu instid0(VALU_DEP_1) | instskip(SKIP_1) | instid1(SALU_CYCLE_1)
	v_cmp_ne_u16_e32 vcc_lo, 0, v5
	s_or_b32 s19, vcc_lo, s19
	s_and_not1_b32 exec_lo, exec_lo, s19
	s_cbranch_execnz .LBB43_276
; %bb.277:
	s_or_b32 exec_lo, exec_lo, s19
	v_and_b32_e32 v3, 0xff, v3
.LBB43_278:
	s_or_b32 exec_lo, exec_lo, s18
	v_cmp_ne_u32_e32 vcc_lo, 31, v16
	v_and_b32_e32 v9, 0xff, v4
	v_lshlrev_b32_e64 v18, v16, -1
	s_mov_b32 s26, 0
	s_mov_b32 s27, 1
	v_add_co_ci_u32_e32 v5, vcc_lo, 0, v16, vcc_lo
	v_cmp_eq_u16_e32 vcc_lo, 2, v9
	v_and_b32_e32 v9, 1, v3
	v_cmp_gt_u64_e64 s18, s[26:27], v[2:3]
	s_delay_alu instid0(VALU_DEP_4)
	v_lshlrev_b32_e32 v17, 2, v5
	v_add_nc_u32_e32 v28, 16, v16
	v_and_or_b32 v10, vcc_lo, v18, 0x80000000
	v_cmp_gt_u32_e32 vcc_lo, 30, v16
	ds_bpermute_b32 v5, v17, v3
	v_cndmask_b32_e64 v11, 0, 1, vcc_lo
	v_cmp_eq_u32_e32 vcc_lo, 1, v9
	v_ctz_i32_b32_e32 v9, v10
	s_waitcnt lgkmcnt(0)
	v_and_b32_e32 v5, 1, v5
	s_delay_alu instid0(VALU_DEP_1) | instskip(NEXT) | instid1(VALU_DEP_3)
	v_cndmask_b32_e64 v5, v5, 1, vcc_lo
	v_cmp_lt_u32_e32 vcc_lo, v16, v9
	v_lshlrev_b32_e32 v10, 1, v11
	s_delay_alu instid0(VALU_DEP_3) | instskip(SKIP_1) | instid1(VALU_DEP_3)
	v_and_b32_e32 v20, 0xffff, v5
	v_cndmask_b32_e32 v5, v3, v5, vcc_lo
	v_add_lshl_u32 v19, v10, v16, 2
	s_delay_alu instid0(VALU_DEP_3)
	v_cndmask_b32_e32 v10, v3, v20, vcc_lo
	ds_bpermute_b32 v11, v17, v2
	s_and_b32 vcc_lo, vcc_lo, s18
	v_and_b32_e32 v23, 0xff, v5
	ds_bpermute_b32 v20, v19, v10
	v_cmp_eq_u16_e64 s18, 0, v23
	s_waitcnt lgkmcnt(1)
	v_cndmask_b32_e32 v3, 0, v11, vcc_lo
	v_and_b32_e32 v11, 1, v5
	v_cmp_gt_u32_e32 vcc_lo, 28, v16
	s_waitcnt lgkmcnt(0)
	v_and_b32_e32 v20, 1, v20
	v_add_nc_u32_e32 v2, v3, v2
	v_cndmask_b32_e64 v21, 0, 1, vcc_lo
	v_cmp_eq_u32_e32 vcc_lo, 1, v11
	ds_bpermute_b32 v3, v19, v2
	v_lshlrev_b32_e32 v21, 2, v21
	v_cndmask_b32_e64 v11, v20, 1, vcc_lo
	v_add_nc_u32_e32 v20, 2, v16
	s_delay_alu instid0(VALU_DEP_3) | instskip(NEXT) | instid1(VALU_DEP_3)
	v_add_lshl_u32 v21, v21, v16, 2
	v_and_b32_e32 v22, 0xffff, v11
	s_delay_alu instid0(VALU_DEP_3) | instskip(NEXT) | instid1(VALU_DEP_2)
	v_cmp_gt_u32_e32 vcc_lo, v20, v9
	v_dual_cndmask_b32 v10, v22, v10 :: v_dual_cndmask_b32 v5, v11, v5
	v_add_nc_u32_e32 v22, 4, v16
	ds_bpermute_b32 v11, v21, v10
	s_waitcnt lgkmcnt(1)
	v_cndmask_b32_e64 v3, 0, v3, s18
	v_and_b32_e32 v23, 1, v5
	s_delay_alu instid0(VALU_DEP_2) | instskip(SKIP_1) | instid1(VALU_DEP_2)
	v_cndmask_b32_e64 v3, v3, 0, vcc_lo
	v_cmp_gt_u32_e32 vcc_lo, 24, v16
	v_add_nc_u32_e32 v2, v3, v2
	v_cndmask_b32_e64 v24, 0, 1, vcc_lo
	v_cmp_eq_u32_e32 vcc_lo, 1, v23
	v_and_b32_e32 v23, 0xff, v5
	ds_bpermute_b32 v3, v21, v2
	v_lshlrev_b32_e32 v24, 3, v24
	v_cmp_eq_u16_e64 s18, 0, v23
	s_waitcnt lgkmcnt(1)
	v_and_b32_e32 v11, 1, v11
	s_delay_alu instid0(VALU_DEP_3) | instskip(SKIP_1) | instid1(VALU_DEP_3)
	v_add_lshl_u32 v23, v24, v16, 2
	v_add_nc_u32_e32 v24, 8, v16
	v_cndmask_b32_e64 v11, v11, 1, vcc_lo
	v_cmp_gt_u32_e32 vcc_lo, v22, v9
	s_delay_alu instid0(VALU_DEP_2) | instskip(NEXT) | instid1(VALU_DEP_1)
	v_and_b32_e32 v25, 0xffff, v11
	v_dual_cndmask_b32 v5, v11, v5 :: v_dual_cndmask_b32 v10, v25, v10
	s_waitcnt lgkmcnt(0)
	v_cndmask_b32_e64 v3, 0, v3, s18
	s_delay_alu instid0(VALU_DEP_2) | instskip(SKIP_4) | instid1(VALU_DEP_2)
	v_and_b32_e32 v25, 1, v5
	v_and_b32_e32 v26, 0xff, v5
	ds_bpermute_b32 v11, v23, v10
	v_cndmask_b32_e64 v3, v3, 0, vcc_lo
	v_cmp_gt_u32_e32 vcc_lo, 16, v16
	v_add_nc_u32_e32 v2, v3, v2
	v_cndmask_b32_e64 v27, 0, 1, vcc_lo
	v_cmp_eq_u32_e32 vcc_lo, 1, v25
	ds_bpermute_b32 v3, v23, v2
	v_lshlrev_b32_e32 v25, 4, v27
	s_delay_alu instid0(VALU_DEP_1) | instskip(SKIP_2) | instid1(VALU_DEP_1)
	v_add_lshl_u32 v27, v25, v16, 2
	s_waitcnt lgkmcnt(1)
	v_and_b32_e32 v11, 1, v11
	v_cndmask_b32_e64 v11, v11, 1, vcc_lo
	v_cmp_eq_u16_e32 vcc_lo, 0, v26
	s_delay_alu instid0(VALU_DEP_2) | instskip(SKIP_3) | instid1(VALU_DEP_2)
	v_and_b32_e32 v26, 0xffff, v11
	s_waitcnt lgkmcnt(0)
	v_cndmask_b32_e32 v3, 0, v3, vcc_lo
	v_cmp_gt_u32_e32 vcc_lo, v24, v9
	v_cndmask_b32_e64 v3, v3, 0, vcc_lo
	v_dual_cndmask_b32 v10, v26, v10 :: v_dual_cndmask_b32 v5, v11, v5
	s_delay_alu instid0(VALU_DEP_2)
	v_add_nc_u32_e32 v2, v3, v2
	ds_bpermute_b32 v3, v27, v10
	v_and_b32_e32 v11, 0xff, v5
	v_and_b32_e32 v25, 1, v5
	ds_bpermute_b32 v10, v27, v2
	v_cmp_eq_u16_e32 vcc_lo, 0, v11
	s_waitcnt lgkmcnt(0)
	v_dual_cndmask_b32 v10, 0, v10 :: v_dual_and_b32 v3, 1, v3
	v_cmp_eq_u32_e32 vcc_lo, 1, v25
	s_delay_alu instid0(VALU_DEP_2) | instskip(SKIP_2) | instid1(VALU_DEP_3)
	v_cndmask_b32_e64 v3, v3, 1, vcc_lo
	v_cmp_gt_u32_e32 vcc_lo, v28, v9
	v_mov_b32_e32 v9, 0
	v_cndmask_b32_e32 v3, v3, v5, vcc_lo
	v_cndmask_b32_e64 v5, v10, 0, vcc_lo
	s_delay_alu instid0(VALU_DEP_1)
	v_add_nc_u32_e32 v2, v5, v2
	s_branch .LBB43_280
.LBB43_279:                             ;   in Loop: Header=BB43_280 Depth=1
	s_or_b32 exec_lo, exec_lo, s18
	ds_bpermute_b32 v5, v17, v3
	v_and_b32_e32 v10, 0xff, v4
	v_cmp_gt_u64_e64 s18, s[26:27], v[2:3]
	v_subrev_nc_u32_e32 v8, 32, v8
	s_delay_alu instid0(VALU_DEP_3) | instskip(SKIP_2) | instid1(VALU_DEP_2)
	v_cmp_eq_u16_e32 vcc_lo, 2, v10
	v_and_b32_e32 v10, 1, v3
	v_and_or_b32 v11, vcc_lo, v18, 0x80000000
	v_cmp_eq_u32_e32 vcc_lo, 1, v10
	s_delay_alu instid0(VALU_DEP_2) | instskip(SKIP_3) | instid1(VALU_DEP_1)
	v_ctz_i32_b32_e32 v10, v11
	ds_bpermute_b32 v11, v17, v2
	s_waitcnt lgkmcnt(1)
	v_and_b32_e32 v5, 1, v5
	v_cndmask_b32_e64 v5, v5, 1, vcc_lo
	v_cmp_lt_u32_e32 vcc_lo, v16, v10
	s_delay_alu instid0(VALU_DEP_2) | instskip(SKIP_1) | instid1(VALU_DEP_2)
	v_and_b32_e32 v29, 0xffff, v5
	v_cndmask_b32_e32 v5, v3, v5, vcc_lo
	v_cndmask_b32_e32 v29, v3, v29, vcc_lo
	s_and_b32 vcc_lo, vcc_lo, s18
	s_delay_alu instid0(VALU_DEP_2)
	v_and_b32_e32 v31, 0xff, v5
	ds_bpermute_b32 v30, v19, v29
	s_waitcnt lgkmcnt(1)
	v_cndmask_b32_e32 v3, 0, v11, vcc_lo
	v_and_b32_e32 v11, 1, v5
	v_cmp_eq_u16_e64 s18, 0, v31
	s_delay_alu instid0(VALU_DEP_2) | instskip(SKIP_2) | instid1(VALU_DEP_1)
	v_cmp_eq_u32_e32 vcc_lo, 1, v11
	s_waitcnt lgkmcnt(0)
	v_and_b32_e32 v30, 1, v30
	v_cndmask_b32_e64 v11, v30, 1, vcc_lo
	v_cmp_gt_u32_e32 vcc_lo, v20, v10
	s_delay_alu instid0(VALU_DEP_2) | instskip(NEXT) | instid1(VALU_DEP_1)
	v_dual_cndmask_b32 v5, v11, v5 :: v_dual_and_b32 v30, 0xffff, v11
	v_dual_cndmask_b32 v11, v30, v29 :: v_dual_add_nc_u32 v2, v3, v2
	s_delay_alu instid0(VALU_DEP_2)
	v_and_b32_e32 v30, 1, v5
	ds_bpermute_b32 v3, v19, v2
	ds_bpermute_b32 v29, v21, v11
	s_waitcnt lgkmcnt(1)
	v_cndmask_b32_e64 v3, 0, v3, s18
	s_waitcnt lgkmcnt(0)
	v_and_b32_e32 v29, 1, v29
	s_delay_alu instid0(VALU_DEP_2) | instskip(SKIP_2) | instid1(VALU_DEP_4)
	v_cndmask_b32_e64 v3, v3, 0, vcc_lo
	v_cmp_eq_u32_e32 vcc_lo, 1, v30
	v_and_b32_e32 v30, 0xff, v5
	v_cndmask_b32_e64 v29, v29, 1, vcc_lo
	v_cmp_gt_u32_e32 vcc_lo, v22, v10
	v_add_nc_u32_e32 v2, v3, v2
	s_delay_alu instid0(VALU_DEP_4) | instskip(NEXT) | instid1(VALU_DEP_4)
	v_cmp_eq_u16_e64 s18, 0, v30
	v_and_b32_e32 v31, 0xffff, v29
	v_cndmask_b32_e32 v5, v29, v5, vcc_lo
	ds_bpermute_b32 v3, v21, v2
	v_dual_cndmask_b32 v11, v31, v11 :: v_dual_and_b32 v30, 1, v5
	v_and_b32_e32 v31, 0xff, v5
	ds_bpermute_b32 v29, v23, v11
	s_waitcnt lgkmcnt(1)
	v_cndmask_b32_e64 v3, 0, v3, s18
	s_delay_alu instid0(VALU_DEP_1) | instskip(SKIP_3) | instid1(VALU_DEP_1)
	v_cndmask_b32_e64 v3, v3, 0, vcc_lo
	v_cmp_eq_u32_e32 vcc_lo, 1, v30
	s_waitcnt lgkmcnt(0)
	v_and_b32_e32 v29, 1, v29
	v_cndmask_b32_e64 v29, v29, 1, vcc_lo
	v_add_nc_u32_e32 v2, v3, v2
	v_cmp_eq_u16_e32 vcc_lo, 0, v31
	s_delay_alu instid0(VALU_DEP_3)
	v_and_b32_e32 v30, 0xffff, v29
	ds_bpermute_b32 v3, v23, v2
	s_waitcnt lgkmcnt(0)
	v_cndmask_b32_e32 v3, 0, v3, vcc_lo
	v_cmp_gt_u32_e32 vcc_lo, v24, v10
	v_cndmask_b32_e32 v5, v29, v5, vcc_lo
	s_delay_alu instid0(VALU_DEP_3) | instskip(SKIP_1) | instid1(VALU_DEP_3)
	v_cndmask_b32_e64 v3, v3, 0, vcc_lo
	v_cndmask_b32_e32 v11, v30, v11, vcc_lo
	v_and_b32_e32 v29, 1, v5
	s_delay_alu instid0(VALU_DEP_3)
	v_add_nc_u32_e32 v2, v3, v2
	ds_bpermute_b32 v3, v27, v11
	v_and_b32_e32 v30, 0xff, v5
	v_cmp_eq_u32_e32 vcc_lo, 1, v29
	ds_bpermute_b32 v11, v27, v2
	s_waitcnt lgkmcnt(1)
	v_cndmask_b32_e64 v3, v3, 1, vcc_lo
	v_cmp_eq_u16_e32 vcc_lo, 0, v30
	s_waitcnt lgkmcnt(0)
	v_cndmask_b32_e32 v11, 0, v11, vcc_lo
	v_cmp_gt_u32_e32 vcc_lo, v28, v10
	v_and_b32_e32 v10, 0xff, v25
	v_cndmask_b32_e32 v3, v3, v5, vcc_lo
	s_delay_alu instid0(VALU_DEP_4) | instskip(NEXT) | instid1(VALU_DEP_3)
	v_cndmask_b32_e64 v5, v11, 0, vcc_lo
	v_cmp_eq_u16_e32 vcc_lo, 0, v10
	s_delay_alu instid0(VALU_DEP_2) | instskip(SKIP_1) | instid1(VALU_DEP_2)
	v_add_nc_u32_e32 v2, v5, v2
	v_and_b32_e32 v5, 1, v25
	v_dual_cndmask_b32 v2, 0, v2 :: v_dual_and_b32 v3, 1, v3
	s_delay_alu instid0(VALU_DEP_2) | instskip(NEXT) | instid1(VALU_DEP_2)
	v_cmp_eq_u32_e32 vcc_lo, 1, v5
	v_add_nc_u32_e32 v2, v2, v26
	s_delay_alu instid0(VALU_DEP_3)
	v_cndmask_b32_e64 v3, v3, 1, vcc_lo
.LBB43_280:                             ; =>This Loop Header: Depth=1
                                        ;     Child Loop BB43_283 Depth 2
	s_delay_alu instid0(VALU_DEP_1) | instskip(NEXT) | instid1(VALU_DEP_2)
	v_dual_mov_b32 v25, v3 :: v_dual_and_b32 v4, 0xff, v4
	v_mov_b32_e32 v26, v2
	s_delay_alu instid0(VALU_DEP_2) | instskip(SKIP_2) | instid1(VALU_DEP_1)
	v_cmp_ne_u16_e32 vcc_lo, 2, v4
	v_cndmask_b32_e64 v4, 0, 1, vcc_lo
	;;#ASMSTART
	;;#ASMEND
	v_cmp_ne_u32_e32 vcc_lo, 0, v4
	s_cmp_lg_u32 vcc_lo, exec_lo
	s_cbranch_scc1 .LBB43_285
; %bb.281:                              ;   in Loop: Header=BB43_280 Depth=1
	v_lshlrev_b64 v[2:3], 4, v[8:9]
	s_mov_b32 s18, exec_lo
	s_delay_alu instid0(VALU_DEP_1) | instskip(NEXT) | instid1(VALU_DEP_2)
	v_add_co_u32 v10, vcc_lo, s28, v2
	v_add_co_ci_u32_e32 v11, vcc_lo, s29, v3, vcc_lo
	;;#ASMSTART
	global_load_dwordx4 v[2:5], v[10:11] off glc	
s_waitcnt vmcnt(0)
	;;#ASMEND
	v_and_b32_e32 v5, 0xffff, v2
	v_and_b32_e32 v29, 0xff0000, v2
	;; [unrolled: 1-line block ×4, first 2 shown]
	s_delay_alu instid0(VALU_DEP_3) | instskip(SKIP_1) | instid1(VALU_DEP_3)
	v_or_b32_e32 v5, v5, v29
	v_and_b32_e32 v29, 0xff, v4
	v_or3_b32 v3, 0, 0, v3
	s_delay_alu instid0(VALU_DEP_3) | instskip(NEXT) | instid1(VALU_DEP_3)
	v_or3_b32 v2, v5, v2, 0
	v_cmpx_eq_u16_e32 0, v29
	s_cbranch_execz .LBB43_279
; %bb.282:                              ;   in Loop: Header=BB43_280 Depth=1
	s_mov_b32 s19, 0
.LBB43_283:                             ;   Parent Loop BB43_280 Depth=1
                                        ; =>  This Inner Loop Header: Depth=2
	;;#ASMSTART
	global_load_dwordx4 v[2:5], v[10:11] off glc	
s_waitcnt vmcnt(0)
	;;#ASMEND
	v_and_b32_e32 v5, 0xff, v4
	s_delay_alu instid0(VALU_DEP_1) | instskip(SKIP_1) | instid1(SALU_CYCLE_1)
	v_cmp_ne_u16_e32 vcc_lo, 0, v5
	s_or_b32 s19, vcc_lo, s19
	s_and_not1_b32 exec_lo, exec_lo, s19
	s_cbranch_execnz .LBB43_283
; %bb.284:                              ;   in Loop: Header=BB43_280 Depth=1
	s_or_b32 exec_lo, exec_lo, s19
	v_and_b32_e32 v3, 0xff, v3
	s_branch .LBB43_279
.LBB43_285:                             ;   in Loop: Header=BB43_280 Depth=1
                                        ; implicit-def: $vgpr3
                                        ; implicit-def: $vgpr2
                                        ; implicit-def: $vgpr4
	s_cbranch_execz .LBB43_280
; %bb.286:
	s_and_saveexec_b32 s18, s17
	s_cbranch_execz .LBB43_288
; %bb.287:
	s_and_b32 s17, s38, 0xff
	s_mov_b32 s27, 0
	s_cmp_eq_u32 s17, 0
	v_and_b32_e32 v3, 1, v25
	s_cselect_b32 vcc_lo, -1, 0
	s_bitcmp1_b32 s38, 0
	v_cndmask_b32_e32 v2, 0, v26, vcc_lo
	s_cselect_b32 s17, -1, 0
	s_add_i32 s26, s31, 32
	v_mov_b32_e32 v4, 0
	s_lshl_b64 s[26:27], s[26:27], 4
	v_add_nc_u32_e32 v1, v2, v1
	s_add_u32 s26, s28, s26
	s_addc_u32 s27, s29, s27
	v_cndmask_b32_e64 v2, v3, 1, s17
	v_dual_mov_b32 v3, 2 :: v_dual_mov_b32 v8, s26
	v_mov_b32_e32 v9, s27
	;;#ASMSTART
	global_store_dwordx4 v[8:9], v[1:4] off	
s_waitcnt vmcnt(0)
	;;#ASMEND
.LBB43_288:
	s_or_b32 exec_lo, exec_lo, s18
	s_delay_alu instid0(SALU_CYCLE_1)
	s_and_b32 exec_lo, exec_lo, s2
	s_cbranch_execz .LBB43_290
; %bb.289:
	v_mov_b32_e32 v1, 0
	ds_store_b32 v1, v26
	ds_store_b8 v1, v25 offset:4
.LBB43_290:
	s_or_b32 exec_lo, exec_lo, s33
	v_dual_mov_b32 v1, 0 :: v_dual_and_b32 v2, 1, v36
	s_waitcnt lgkmcnt(0)
	v_and_b32_e32 v3, 1, v15
	s_barrier
	buffer_gl0_inv
	v_cmp_eq_u32_e32 vcc_lo, 1, v2
	ds_load_b32 v1, v1
	s_mov_b32 s19, 1
	s_mov_b32 s18, 0
	v_cndmask_b32_e64 v2, v3, 1, vcc_lo
	v_cmp_gt_u64_e32 vcc_lo, s[18:19], v[35:36]
	s_delay_alu instid0(VALU_DEP_2) | instskip(SKIP_1) | instid1(VALU_DEP_2)
	v_cndmask_b32_e64 v2, v2, v36, s2
	v_cndmask_b32_e32 v3, 0, v14, vcc_lo
	v_and_b32_e32 v2, 0xff, v2
	s_delay_alu instid0(VALU_DEP_2) | instskip(NEXT) | instid1(VALU_DEP_2)
	v_cndmask_b32_e64 v3, v3, 0, s2
	v_cmp_eq_u16_e32 vcc_lo, 0, v2
	s_waitcnt lgkmcnt(0)
	v_cndmask_b32_e32 v1, 0, v1, vcc_lo
	s_delay_alu instid0(VALU_DEP_1) | instskip(NEXT) | instid1(VALU_DEP_1)
	v_add3_u32 v23, v3, v35, v1
	v_cndmask_b32_e64 v1, 0, v23, s0
	s_delay_alu instid0(VALU_DEP_1) | instskip(NEXT) | instid1(VALU_DEP_1)
	v_add_nc_u32_e32 v4, v1, v37
	v_cndmask_b32_e64 v1, 0, v4, s1
	s_delay_alu instid0(VALU_DEP_1) | instskip(NEXT) | instid1(VALU_DEP_1)
	v_add_nc_u32_e32 v5, v1, v39
	;; [unrolled: 3-line block ×14, first 2 shown]
	v_cndmask_b32_e64 v1, 0, v21, s16
	s_delay_alu instid0(VALU_DEP_1)
	v_add_nc_u32_e32 v22, v1, v6
	s_branch .LBB43_309
.LBB43_291:
                                        ; implicit-def: $vgpr23
                                        ; implicit-def: $vgpr4
                                        ; implicit-def: $vgpr5
                                        ; implicit-def: $vgpr8
                                        ; implicit-def: $vgpr9
                                        ; implicit-def: $vgpr10
                                        ; implicit-def: $vgpr11
                                        ; implicit-def: $vgpr14
                                        ; implicit-def: $vgpr15
                                        ; implicit-def: $vgpr16
                                        ; implicit-def: $vgpr17
                                        ; implicit-def: $vgpr18
                                        ; implicit-def: $vgpr19
                                        ; implicit-def: $vgpr20
                                        ; implicit-def: $vgpr21
                                        ; implicit-def: $vgpr22
	s_cbranch_execz .LBB43_309
; %bb.292:
	s_cmp_lg_u64 s[44:45], 0
	s_mov_b32 s16, 0
	s_cselect_b32 s1, s23, 0
	s_cselect_b32 s0, s22, 0
	s_delay_alu instid0(SALU_CYCLE_1) | instskip(SKIP_1) | instid1(SALU_CYCLE_1)
	s_cmp_lg_u64 s[0:1], 0
	s_cselect_b32 s4, -1, 0
	s_and_b32 s5, s2, s4
	s_delay_alu instid0(SALU_CYCLE_1)
	s_and_saveexec_b32 s4, s5
	s_cbranch_execz .LBB43_294
; %bb.293:
	s_mov_b32 s17, 1
	s_delay_alu instid0(SALU_CYCLE_1)
	v_cmp_gt_u64_e32 vcc_lo, s[16:17], v[35:36]
	v_mov_b32_e32 v1, 0
	s_clause 0x1
	global_load_b32 v2, v1, s[0:1]
	global_load_u8 v3, v1, s[0:1] offset:4
	s_waitcnt vmcnt(1)
	v_cndmask_b32_e32 v4, 0, v2, vcc_lo
	v_and_b32_e32 v2, 1, v36
	s_waitcnt vmcnt(0)
	v_and_b32_e32 v3, 1, v3
	s_delay_alu instid0(VALU_DEP_3) | instskip(NEXT) | instid1(VALU_DEP_3)
	v_add_nc_u32_e32 v35, v4, v35
	v_cmp_eq_u64_e32 vcc_lo, 0, v[1:2]
	s_delay_alu instid0(VALU_DEP_3)
	v_cndmask_b32_e32 v36, 1, v3, vcc_lo
.LBB43_294:
	s_or_b32 exec_lo, exec_lo, s4
	s_mov_b32 s17, 1
	v_or3_b32 v2, v13, v60, v58
	v_cmp_gt_u64_e32 vcc_lo, s[16:17], v[37:38]
	v_cmp_gt_u64_e64 s0, s[16:17], v[39:40]
	v_cmp_gt_u64_e64 s1, s[16:17], v[41:42]
	v_cmp_gt_u64_e64 s4, s[16:17], v[43:44]
	v_cmp_gt_u64_e64 s5, s[16:17], v[45:46]
	v_cmp_gt_u64_e64 s6, s[16:17], v[47:48]
	v_cndmask_b32_e32 v1, 0, v35, vcc_lo
	v_cmp_gt_u64_e64 s7, s[16:17], v[49:50]
	v_cmp_gt_u64_e64 s8, s[16:17], v[51:52]
	;; [unrolled: 1-line block ×4, first 2 shown]
	v_add_nc_u32_e32 v4, v1, v37
	v_cmp_gt_u64_e64 s11, s[16:17], v[57:58]
	v_cmp_gt_u64_e64 s12, s[16:17], v[59:60]
	;; [unrolled: 1-line block ×4, first 2 shown]
	v_cndmask_b32_e64 v1, 0, v4, s0
	v_cmp_gt_u64_e64 s15, s[16:17], v[6:7]
	v_add_lshl_u32 v3, v12, v0, 3
	s_mov_b32 s17, exec_lo
	s_delay_alu instid0(VALU_DEP_3) | instskip(NEXT) | instid1(VALU_DEP_1)
	v_add_nc_u32_e32 v5, v1, v39
	v_cndmask_b32_e64 v1, 0, v5, s1
	s_delay_alu instid0(VALU_DEP_1) | instskip(NEXT) | instid1(VALU_DEP_1)
	v_add_nc_u32_e32 v8, v1, v41
	v_cndmask_b32_e64 v1, 0, v8, s4
	s_delay_alu instid0(VALU_DEP_1) | instskip(NEXT) | instid1(VALU_DEP_1)
	;; [unrolled: 3-line block ×9, first 2 shown]
	v_add_nc_u32_e32 v18, v1, v57
	v_cndmask_b32_e64 v1, 0, v18, s12
	s_delay_alu instid0(VALU_DEP_1) | instskip(SKIP_1) | instid1(VALU_DEP_2)
	v_add_nc_u32_e32 v19, v1, v59
	v_or3_b32 v1, v2, v56, v54
	v_cndmask_b32_e64 v2, 0, v19, s13
	s_delay_alu instid0(VALU_DEP_2) | instskip(NEXT) | instid1(VALU_DEP_2)
	v_or3_b32 v1, v1, v52, v50
	v_add_nc_u32_e32 v20, v2, v61
	s_delay_alu instid0(VALU_DEP_2) | instskip(NEXT) | instid1(VALU_DEP_2)
	v_or3_b32 v1, v1, v48, v46
	v_cndmask_b32_e64 v2, 0, v20, s14
	s_delay_alu instid0(VALU_DEP_2) | instskip(NEXT) | instid1(VALU_DEP_2)
	v_or3_b32 v1, v1, v44, v42
	v_add_nc_u32_e32 v21, v2, v63
	s_delay_alu instid0(VALU_DEP_2) | instskip(NEXT) | instid1(VALU_DEP_2)
	v_or3_b32 v1, v1, v40, v38
	v_cndmask_b32_e64 v2, 0, v21, s15
	s_delay_alu instid0(VALU_DEP_2) | instskip(NEXT) | instid1(VALU_DEP_2)
	v_and_b32_e32 v1, 1, v1
	v_add_nc_u32_e32 v22, v2, v6
	s_delay_alu instid0(VALU_DEP_2) | instskip(NEXT) | instid1(VALU_DEP_1)
	v_cmp_eq_u32_e64 s16, 1, v1
	v_cndmask_b32_e64 v7, v36, 1, s16
	ds_store_b32 v3, v22
	ds_store_b8 v3, v7 offset:4
	s_waitcnt lgkmcnt(0)
	s_barrier
	buffer_gl0_inv
	v_cmpx_gt_u32_e32 32, v0
	s_cbranch_execz .LBB43_304
; %bb.295:
	v_lshlrev_b32_e32 v1, 1, v0
	s_mov_b32 s18, exec_lo
	s_delay_alu instid0(VALU_DEP_1) | instskip(NEXT) | instid1(VALU_DEP_1)
	v_and_b32_e32 v1, 0x1f8, v1
	v_lshl_or_b32 v3, v0, 6, v1
	ds_load_u8 v13, v3 offset:12
	ds_load_b64 v[1:2], v3
	ds_load_u8 v27, v3 offset:20
	ds_load_2addr_b32 v[23:24], v3 offset0:2 offset1:4
	ds_load_u8 v28, v3 offset:28
	ds_load_u8 v29, v3 offset:36
	;; [unrolled: 1-line block ×4, first 2 shown]
	ds_load_b32 v32, v3 offset:56
	ds_load_u8 v33, v3 offset:60
	s_waitcnt lgkmcnt(9)
	v_and_b32_e32 v25, 0xff, v13
	s_waitcnt lgkmcnt(7)
	v_and_b32_e32 v38, 0xff, v27
	s_delay_alu instid0(VALU_DEP_2)
	v_cmp_eq_u16_e64 s16, 0, v25
	ds_load_2addr_b32 v[25:26], v3 offset0:6 offset1:8
	s_waitcnt lgkmcnt(5)
	v_and_b32_e32 v40, 0xff, v29
	v_cndmask_b32_e64 v34, 0, v1, s16
	v_cmp_eq_u16_e64 s16, 0, v38
	s_delay_alu instid0(VALU_DEP_2) | instskip(SKIP_1) | instid1(VALU_DEP_2)
	v_add_nc_u32_e32 v23, v34, v23
	v_and_b32_e32 v34, 0xff, v28
	v_cndmask_b32_e64 v23, 0, v23, s16
	s_delay_alu instid0(VALU_DEP_2) | instskip(NEXT) | instid1(VALU_DEP_2)
	v_cmp_eq_u16_e64 s16, 0, v34
	v_add_nc_u32_e32 v23, v23, v24
	s_waitcnt lgkmcnt(1)
	v_or_b32_e32 v24, v33, v31
	s_delay_alu instid0(VALU_DEP_2) | instskip(NEXT) | instid1(VALU_DEP_2)
	v_cndmask_b32_e64 v34, 0, v23, s16
	v_or_b32_e32 v38, v24, v30
	ds_load_2addr_b32 v[23:24], v3 offset0:10 offset1:12
	v_cmp_eq_u16_e64 s16, 0, v40
	s_waitcnt lgkmcnt(1)
	v_add_nc_u32_e32 v25, v34, v25
	v_or_b32_e32 v29, v38, v29
	s_delay_alu instid0(VALU_DEP_2) | instskip(NEXT) | instid1(VALU_DEP_2)
	v_cndmask_b32_e64 v25, 0, v25, s16
	v_or_b32_e32 v28, v29, v28
	v_and_b32_e32 v29, 0xff, v30
	s_delay_alu instid0(VALU_DEP_3) | instskip(NEXT) | instid1(VALU_DEP_3)
	v_add_nc_u32_e32 v25, v25, v26
	v_or_b32_e32 v26, v28, v27
	s_delay_alu instid0(VALU_DEP_3) | instskip(NEXT) | instid1(VALU_DEP_2)
	v_cmp_eq_u16_e64 s16, 0, v29
	v_or_b32_e32 v13, v26, v13
	s_delay_alu instid0(VALU_DEP_2) | instskip(SKIP_2) | instid1(VALU_DEP_2)
	v_cndmask_b32_e64 v25, 0, v25, s16
	v_and_b32_e32 v26, 0xff, v31
	s_waitcnt lgkmcnt(0)
	v_add_nc_u32_e32 v23, v25, v23
	v_and_b32_e32 v25, 1, v13
	s_delay_alu instid0(VALU_DEP_3) | instskip(SKIP_1) | instid1(VALU_DEP_2)
	v_cmp_eq_u16_e64 s16, 0, v26
	v_and_b32_e32 v13, 1, v2
	v_cndmask_b32_e64 v23, 0, v23, s16
	s_delay_alu instid0(VALU_DEP_4) | instskip(SKIP_1) | instid1(VALU_DEP_3)
	v_cmp_eq_u32_e64 s16, 1, v25
	v_mbcnt_lo_u32_b32 v25, -1, 0
	v_add_nc_u32_e32 v24, v23, v24
	s_delay_alu instid0(VALU_DEP_3) | instskip(SKIP_2) | instid1(VALU_DEP_3)
	v_cndmask_b32_e64 v26, v13, 1, s16
	v_cmp_eq_u16_e64 s16, 0, v33
	v_and_b32_e32 v23, 0xffffff00, v2
	v_and_b32_e32 v27, 0xffff, v26
	s_delay_alu instid0(VALU_DEP_3) | instskip(NEXT) | instid1(VALU_DEP_2)
	v_cndmask_b32_e64 v24, 0, v24, s16
	v_or_b32_e32 v28, v23, v27
	s_delay_alu instid0(VALU_DEP_2) | instskip(SKIP_1) | instid1(VALU_DEP_3)
	v_add_nc_u32_e32 v24, v24, v32
	v_and_b32_e32 v27, 15, v25
	v_mov_b32_dpp v30, v28 row_shr:1 row_mask:0xf bank_mask:0xf
	s_delay_alu instid0(VALU_DEP_3) | instskip(NEXT) | instid1(VALU_DEP_3)
	v_mov_b32_dpp v29, v24 row_shr:1 row_mask:0xf bank_mask:0xf
	v_cmpx_ne_u32_e32 0, v27
; %bb.296:
	v_and_b32_e32 v28, 1, v26
	s_delay_alu instid0(VALU_DEP_4) | instskip(NEXT) | instid1(VALU_DEP_2)
	v_and_b32_e32 v30, 1, v30
	v_cmp_eq_u32_e64 s16, 1, v28
	s_delay_alu instid0(VALU_DEP_1) | instskip(SKIP_1) | instid1(VALU_DEP_2)
	v_cndmask_b32_e64 v30, v30, 1, s16
	v_cmp_eq_u16_e64 s16, 0, v26
	v_and_b32_e32 v28, 0xffff, v30
	s_delay_alu instid0(VALU_DEP_2) | instskip(NEXT) | instid1(VALU_DEP_2)
	v_cndmask_b32_e64 v26, 0, v29, s16
	v_or_b32_e32 v28, v23, v28
	s_delay_alu instid0(VALU_DEP_2)
	v_add_nc_u32_e32 v24, v26, v24
	v_mov_b32_e32 v26, v30
; %bb.297:
	s_or_b32 exec_lo, exec_lo, s18
	s_delay_alu instid0(VALU_DEP_2)
	v_mov_b32_dpp v29, v24 row_shr:2 row_mask:0xf bank_mask:0xf
	v_mov_b32_dpp v30, v28 row_shr:2 row_mask:0xf bank_mask:0xf
	s_mov_b32 s18, exec_lo
	v_cmpx_lt_u32_e32 1, v27
; %bb.298:
	v_and_b32_e32 v28, 1, v26
	s_delay_alu instid0(VALU_DEP_3) | instskip(NEXT) | instid1(VALU_DEP_2)
	v_and_b32_e32 v30, 1, v30
	v_cmp_eq_u32_e64 s16, 1, v28
	s_delay_alu instid0(VALU_DEP_1) | instskip(SKIP_1) | instid1(VALU_DEP_2)
	v_cndmask_b32_e64 v30, v30, 1, s16
	v_cmp_eq_u16_e64 s16, 0, v26
	v_and_b32_e32 v28, 0xffff, v30
	s_delay_alu instid0(VALU_DEP_2) | instskip(NEXT) | instid1(VALU_DEP_2)
	v_cndmask_b32_e64 v26, 0, v29, s16
	v_or_b32_e32 v28, v23, v28
	s_delay_alu instid0(VALU_DEP_2)
	v_add_nc_u32_e32 v24, v26, v24
	v_mov_b32_e32 v26, v30
; %bb.299:
	s_or_b32 exec_lo, exec_lo, s18
	s_delay_alu instid0(VALU_DEP_2)
	v_mov_b32_dpp v29, v24 row_shr:4 row_mask:0xf bank_mask:0xf
	v_mov_b32_dpp v30, v28 row_shr:4 row_mask:0xf bank_mask:0xf
	s_mov_b32 s18, exec_lo
	v_cmpx_lt_u32_e32 3, v27
; %bb.300:
	v_and_b32_e32 v28, 1, v26
	s_delay_alu instid0(VALU_DEP_3) | instskip(NEXT) | instid1(VALU_DEP_2)
	;; [unrolled: 22-line block ×3, first 2 shown]
	v_and_b32_e32 v28, 1, v30
	v_cmp_eq_u32_e64 s16, 1, v27
	s_delay_alu instid0(VALU_DEP_1) | instskip(SKIP_1) | instid1(VALU_DEP_2)
	v_cndmask_b32_e64 v27, v28, 1, s16
	v_cmp_eq_u16_e64 s16, 0, v26
	v_and_b32_e32 v28, 0xffff, v27
	s_delay_alu instid0(VALU_DEP_2) | instskip(NEXT) | instid1(VALU_DEP_2)
	v_cndmask_b32_e64 v26, 0, v29, s16
	v_or_b32_e32 v28, v23, v28
	s_delay_alu instid0(VALU_DEP_2)
	v_add_nc_u32_e32 v24, v26, v24
	v_mov_b32_e32 v26, v27
; %bb.303:
	s_or_b32 exec_lo, exec_lo, s18
	ds_swizzle_b32 v27, v28 offset:swizzle(BROADCAST,32,15)
	ds_swizzle_b32 v28, v24 offset:swizzle(BROADCAST,32,15)
	v_and_b32_e32 v29, 1, v26
	v_and_b32_e32 v30, 16, v25
	v_bfe_i32 v31, v25, 4, 1
	v_and_b32_e32 v2, 0xff, v2
	s_delay_alu instid0(VALU_DEP_4) | instskip(SKIP_3) | instid1(VALU_DEP_1)
	v_cmp_eq_u32_e64 s16, 1, v29
	v_add_nc_u32_e32 v29, -1, v25
	; wave barrier
	s_waitcnt lgkmcnt(1)
	v_and_b32_e32 v27, 1, v27
	v_cndmask_b32_e64 v27, v27, 1, s16
	v_cmp_eq_u16_e64 s16, 0, v26
	s_waitcnt lgkmcnt(0)
	s_delay_alu instid0(VALU_DEP_1) | instskip(SKIP_1) | instid1(VALU_DEP_1)
	v_cndmask_b32_e64 v28, 0, v28, s16
	v_cmp_eq_u32_e64 s16, 0, v30
	v_cndmask_b32_e64 v26, v27, v26, s16
	v_cmp_gt_i32_e64 s16, 0, v29
	s_delay_alu instid0(VALU_DEP_4) | instskip(NEXT) | instid1(VALU_DEP_3)
	v_and_b32_e32 v27, v31, v28
	v_and_b32_e32 v26, 0xffff, v26
	s_delay_alu instid0(VALU_DEP_3) | instskip(NEXT) | instid1(VALU_DEP_3)
	v_cndmask_b32_e64 v25, v29, v25, s16
	v_add_nc_u32_e32 v24, v27, v24
	v_cmp_eq_u16_e64 s16, 0, v2
	s_delay_alu instid0(VALU_DEP_4) | instskip(NEXT) | instid1(VALU_DEP_4)
	v_or_b32_e32 v23, v23, v26
	v_lshlrev_b32_e32 v25, 2, v25
	ds_bpermute_b32 v24, v25, v24
	ds_bpermute_b32 v23, v25, v23
	s_waitcnt lgkmcnt(1)
	v_cndmask_b32_e64 v2, 0, v24, s16
	s_waitcnt lgkmcnt(0)
	v_and_b32_e32 v23, 1, v23
	v_cmp_eq_u32_e64 s16, 1, v13
	s_delay_alu instid0(VALU_DEP_3) | instskip(NEXT) | instid1(VALU_DEP_2)
	v_add_nc_u32_e32 v1, v2, v1
	v_cndmask_b32_e64 v2, v23, 1, s16
	s_delay_alu instid0(VALU_DEP_2) | instskip(NEXT) | instid1(VALU_DEP_2)
	v_cndmask_b32_e64 v13, v1, v22, s2
	v_cndmask_b32_e64 v7, v2, v7, s2
	ds_store_b32 v3, v13
	ds_store_b8 v3, v7 offset:4
	; wave barrier
	ds_load_u8 v25, v3 offset:12
	ds_load_2addr_b32 v[1:2], v3 offset0:2 offset1:4
	ds_load_u8 v26, v3 offset:20
	ds_load_u8 v27, v3 offset:28
	ds_load_u8 v28, v3 offset:36
	ds_load_u8 v29, v3 offset:44
	ds_load_u8 v30, v3 offset:52
	ds_load_b32 v31, v3 offset:56
	ds_load_u8 v32, v3 offset:60
	ds_load_2addr_b32 v[23:24], v3 offset0:6 offset1:8
	s_waitcnt lgkmcnt(9)
	v_cmp_eq_u16_e64 s16, 0, v25
	v_and_b32_e32 v25, 1, v25
	s_delay_alu instid0(VALU_DEP_2) | instskip(SKIP_3) | instid1(VALU_DEP_3)
	v_cndmask_b32_e64 v13, 0, v13, s16
	s_waitcnt lgkmcnt(7)
	v_cmp_eq_u16_e64 s16, 0, v26
	v_and_b32_e32 v26, 1, v26
	v_add_nc_u32_e32 v13, v13, v1
	s_delay_alu instid0(VALU_DEP_1) | instskip(SKIP_2) | instid1(VALU_DEP_2)
	v_cndmask_b32_e64 v1, 0, v13, s16
	s_waitcnt lgkmcnt(6)
	v_cmp_eq_u16_e64 s16, 0, v27
	v_add_nc_u32_e32 v33, v1, v2
	ds_load_2addr_b32 v[1:2], v3 offset0:10 offset1:12
	v_cndmask_b32_e64 v34, 0, v33, s16
	s_waitcnt lgkmcnt(6)
	v_cmp_eq_u16_e64 s16, 0, v28
	ds_store_2addr_b32 v3, v13, v33 offset0:2 offset1:4
	s_waitcnt lgkmcnt(2)
	v_add_nc_u32_e32 v23, v34, v23
	s_delay_alu instid0(VALU_DEP_1) | instskip(SKIP_3) | instid1(VALU_DEP_4)
	v_cndmask_b32_e64 v34, 0, v23, s16
	v_cmp_eq_u32_e64 s16, 1, v25
	v_and_b32_e32 v25, 1, v27
	v_and_b32_e32 v27, 1, v28
	v_add_nc_u32_e32 v24, v34, v24
	s_delay_alu instid0(VALU_DEP_4) | instskip(SKIP_2) | instid1(VALU_DEP_2)
	v_cndmask_b32_e64 v7, v7, 1, s16
	v_cmp_eq_u32_e64 s16, 1, v26
	v_and_b32_e32 v34, 1, v32
	v_cndmask_b32_e64 v26, v7, 1, s16
	v_cmp_eq_u16_e64 s16, 0, v29
	v_and_b32_e32 v29, 1, v29
	s_delay_alu instid0(VALU_DEP_2) | instskip(SKIP_2) | instid1(VALU_DEP_2)
	v_cndmask_b32_e64 v28, 0, v24, s16
	v_cmp_eq_u32_e64 s16, 1, v25
	s_waitcnt lgkmcnt(1)
	v_add_nc_u32_e32 v1, v28, v1
	s_delay_alu instid0(VALU_DEP_2) | instskip(SKIP_2) | instid1(VALU_DEP_2)
	v_cndmask_b32_e64 v25, v26, 1, s16
	v_cmp_eq_u32_e64 s16, 1, v27
	v_and_b32_e32 v28, 1, v30
	v_cndmask_b32_e64 v27, v25, 1, s16
	v_cmp_eq_u16_e64 s16, 0, v30
	s_delay_alu instid0(VALU_DEP_1) | instskip(SKIP_1) | instid1(VALU_DEP_2)
	v_cndmask_b32_e64 v30, 0, v1, s16
	v_cmp_eq_u32_e64 s16, 1, v29
	v_add_nc_u32_e32 v2, v30, v2
	s_delay_alu instid0(VALU_DEP_2)
	v_cndmask_b32_e64 v29, v27, 1, s16
	v_cmp_eq_u32_e64 s16, 1, v28
	ds_store_2addr_b32 v3, v23, v24 offset0:6 offset1:8
	ds_store_2addr_b32 v3, v1, v2 offset0:10 offset1:12
	v_cndmask_b32_e64 v28, v29, 1, s16
	v_cmp_eq_u16_e64 s16, 0, v32
	s_delay_alu instid0(VALU_DEP_1) | instskip(SKIP_1) | instid1(VALU_DEP_2)
	v_cndmask_b32_e64 v13, 0, v2, s16
	v_cmp_eq_u32_e64 s16, 1, v34
	v_add_nc_u32_e32 v1, v13, v31
	s_delay_alu instid0(VALU_DEP_2)
	v_cndmask_b32_e64 v30, v28, 1, s16
	ds_store_b8 v3, v7 offset:12
	ds_store_b8 v3, v26 offset:20
	;; [unrolled: 1-line block ×6, first 2 shown]
	ds_store_b32 v3, v1 offset:56
	ds_store_b8 v3, v30 offset:60
.LBB43_304:
	s_or_b32 exec_lo, exec_lo, s17
	v_mov_b32_e32 v1, v22
	s_waitcnt lgkmcnt(0)
	s_barrier
	buffer_gl0_inv
	s_and_saveexec_b32 s16, s3
	s_cbranch_execnz .LBB43_332
; %bb.305:
	s_or_b32 exec_lo, exec_lo, s16
	s_and_saveexec_b32 s16, s3
	s_cbranch_execnz .LBB43_333
.LBB43_306:
	s_or_b32 exec_lo, exec_lo, s16
	s_and_saveexec_b32 s0, s2
	s_cbranch_execz .LBB43_308
.LBB43_307:
	v_dual_mov_b32 v26, 0 :: v_dual_mov_b32 v25, 2
	s_add_u32 s2, s28, 0x200
	s_addc_u32 s3, s29, 0
	s_waitcnt lgkmcnt(0)
	v_dual_mov_b32 v1, s2 :: v_dual_mov_b32 v2, s3
	ds_load_b32 v23, v26 offset:2096
	ds_load_u8 v24, v26 offset:2100
	s_waitcnt lgkmcnt(0)
	;;#ASMSTART
	global_store_dwordx4 v[1:2], v[23:26] off	
s_waitcnt vmcnt(0)
	;;#ASMEND
.LBB43_308:
	s_or_b32 exec_lo, exec_lo, s0
	v_mov_b32_e32 v23, v35
.LBB43_309:
	s_add_u32 s0, s34, s36
	v_lshlrev_b32_e32 v37, 1, v0
	v_or_b32_e32 v36, 0x100, v0
	v_or_b32_e32 v35, 0x200, v0
	;; [unrolled: 1-line block ×15, first 2 shown]
	v_lshlrev_b32_e32 v6, 2, v0
	s_addc_u32 s1, s35, s37
	s_add_u32 s0, s0, s24
	s_addc_u32 s1, s1, s25
	s_and_b32 vcc_lo, exec_lo, s21
	s_cbranch_vccz .LBB43_327
; %bb.310:
	s_waitcnt lgkmcnt(0)
	v_and_b32_e32 v1, 0x1fc, v37
	s_barrier
	buffer_gl0_inv
	v_lshrrev_b32_e32 v2, 5, v35
	v_lshl_add_u32 v1, v0, 6, v1
	v_lshrrev_b32_e32 v3, 5, v34
	v_lshrrev_b32_e32 v38, 5, v33
	;; [unrolled: 1-line block ×4, first 2 shown]
	ds_store_2addr_b32 v1, v23, v4 offset1:1
	ds_store_2addr_b32 v1, v5, v8 offset0:2 offset1:3
	ds_store_2addr_b32 v1, v9, v10 offset0:4 offset1:5
	;; [unrolled: 1-line block ×7, first 2 shown]
	v_lshrrev_b32_e32 v1, 5, v36
	v_lshrrev_b32_e32 v41, 5, v30
	;; [unrolled: 1-line block ×3, first 2 shown]
	v_add_lshl_u32 v2, v2, v0, 2
	v_add_lshl_u32 v3, v3, v0, 2
	;; [unrolled: 1-line block ×4, first 2 shown]
	v_lshrrev_b32_e32 v43, 5, v28
	v_add_lshl_u32 v39, v39, v0, 2
	v_lshrrev_b32_e32 v45, 5, v27
	s_waitcnt lgkmcnt(0)
	s_barrier
	buffer_gl0_inv
	v_add_lshl_u32 v40, v40, v0, 2
	v_add_lshl_u32 v41, v41, v0, 2
	;; [unrolled: 1-line block ×3, first 2 shown]
	ds_load_b32 v52, v1 offset:1024
	ds_load_b32 v51, v2 offset:2048
	;; [unrolled: 1-line block ×8, first 2 shown]
	v_lshrrev_b32_e32 v3, 5, v26
	v_lshrrev_b32_e32 v38, 5, v25
	;; [unrolled: 1-line block ×3, first 2 shown]
	v_add_lshl_u32 v1, v43, v0, 2
	v_lshrrev_b32_e32 v40, 5, v13
	v_lshrrev_b32_e32 v41, 5, v7
	v_add_lshl_u32 v2, v45, v0, 2
	v_add_lshl_u32 v3, v3, v0, 2
	;; [unrolled: 1-line block ×6, first 2 shown]
	ds_load_b32 v45, v1 offset:9216
	ds_load_b32 v43, v2 offset:10240
	;; [unrolled: 1-line block ×7, first 2 shown]
	v_add_co_u32 v2, s3, s0, v6
	v_mov_b32_e32 v1, 0
	v_add_co_ci_u32_e64 v3, null, s1, 0, s3
	s_lshl_b32 s2, s20, 12
	s_mov_b32 s3, exec_lo
	s_sub_i32 s2, s30, s2
	s_delay_alu instid0(SALU_CYCLE_1)
	v_cmpx_gt_u32_e64 s2, v0
	s_cbranch_execnz .LBB43_334
; %bb.311:
	s_or_b32 exec_lo, exec_lo, s3
	s_delay_alu instid0(SALU_CYCLE_1)
	s_mov_b32 s3, exec_lo
	v_cmpx_gt_u32_e64 s2, v36
	s_cbranch_execnz .LBB43_335
.LBB43_312:
	s_or_b32 exec_lo, exec_lo, s3
	s_delay_alu instid0(SALU_CYCLE_1)
	s_mov_b32 s3, exec_lo
	v_cmpx_gt_u32_e64 s2, v35
	s_cbranch_execnz .LBB43_336
.LBB43_313:
	s_or_b32 exec_lo, exec_lo, s3
	s_delay_alu instid0(SALU_CYCLE_1)
	s_mov_b32 s3, exec_lo
	v_cmpx_gt_u32_e64 s2, v34
	s_cbranch_execnz .LBB43_337
.LBB43_314:
	s_or_b32 exec_lo, exec_lo, s3
	s_delay_alu instid0(SALU_CYCLE_1)
	s_mov_b32 s3, exec_lo
	v_cmpx_gt_u32_e64 s2, v33
	s_cbranch_execnz .LBB43_338
.LBB43_315:
	s_or_b32 exec_lo, exec_lo, s3
	s_delay_alu instid0(SALU_CYCLE_1)
	s_mov_b32 s3, exec_lo
	v_cmpx_gt_u32_e64 s2, v32
	s_cbranch_execnz .LBB43_339
.LBB43_316:
	s_or_b32 exec_lo, exec_lo, s3
	s_delay_alu instid0(SALU_CYCLE_1)
	s_mov_b32 s3, exec_lo
	v_cmpx_gt_u32_e64 s2, v31
	s_cbranch_execnz .LBB43_340
.LBB43_317:
	s_or_b32 exec_lo, exec_lo, s3
	s_delay_alu instid0(SALU_CYCLE_1)
	s_mov_b32 s3, exec_lo
	v_cmpx_gt_u32_e64 s2, v30
	s_cbranch_execnz .LBB43_341
.LBB43_318:
	s_or_b32 exec_lo, exec_lo, s3
	s_delay_alu instid0(SALU_CYCLE_1)
	s_mov_b32 s3, exec_lo
	v_cmpx_gt_u32_e64 s2, v29
	s_cbranch_execnz .LBB43_342
.LBB43_319:
	s_or_b32 exec_lo, exec_lo, s3
	s_delay_alu instid0(SALU_CYCLE_1)
	s_mov_b32 s3, exec_lo
	v_cmpx_gt_u32_e64 s2, v28
	s_cbranch_execnz .LBB43_343
.LBB43_320:
	s_or_b32 exec_lo, exec_lo, s3
	s_delay_alu instid0(SALU_CYCLE_1)
	s_mov_b32 s3, exec_lo
	v_cmpx_gt_u32_e64 s2, v27
	s_cbranch_execnz .LBB43_344
.LBB43_321:
	s_or_b32 exec_lo, exec_lo, s3
	s_delay_alu instid0(SALU_CYCLE_1)
	s_mov_b32 s3, exec_lo
	v_cmpx_gt_u32_e64 s2, v26
	s_cbranch_execnz .LBB43_345
.LBB43_322:
	s_or_b32 exec_lo, exec_lo, s3
	s_delay_alu instid0(SALU_CYCLE_1)
	s_mov_b32 s3, exec_lo
	v_cmpx_gt_u32_e64 s2, v25
	s_cbranch_execnz .LBB43_346
.LBB43_323:
	s_or_b32 exec_lo, exec_lo, s3
	s_delay_alu instid0(SALU_CYCLE_1)
	s_mov_b32 s3, exec_lo
	v_cmpx_gt_u32_e64 s2, v24
	s_cbranch_execnz .LBB43_347
.LBB43_324:
	s_or_b32 exec_lo, exec_lo, s3
	s_delay_alu instid0(SALU_CYCLE_1)
	s_mov_b32 s3, exec_lo
	v_cmpx_gt_u32_e64 s2, v13
	s_cbranch_execz .LBB43_326
.LBB43_325:
	v_add_co_u32 v2, vcc_lo, 0x3000, v2
	v_add_co_ci_u32_e32 v3, vcc_lo, 0, v3, vcc_lo
	s_waitcnt lgkmcnt(1)
	flat_store_b32 v[2:3], v39 offset:2048
.LBB43_326:
	s_or_b32 exec_lo, exec_lo, s3
	v_cmp_gt_u32_e64 s2, s2, v7
	s_branch .LBB43_329
.LBB43_327:
	s_mov_b32 s2, 0
                                        ; implicit-def: $vgpr38
	s_cbranch_execz .LBB43_329
; %bb.328:
	s_waitcnt lgkmcnt(0)
	v_and_b32_e32 v1, 0x1fc, v37
	s_waitcnt_vscnt null, 0x0
	s_barrier
	buffer_gl0_inv
	v_lshrrev_b32_e32 v2, 5, v35
	v_lshl_add_u32 v1, v0, 6, v1
	v_add_lshl_u32 v3, v12, v0, 2
	v_lshrrev_b32_e32 v12, 5, v28
	v_lshrrev_b32_e32 v7, 5, v7
	v_add_lshl_u32 v2, v2, v0, 2
	ds_store_2addr_b32 v1, v23, v4 offset1:1
	ds_store_2addr_b32 v1, v5, v8 offset0:2 offset1:3
	ds_store_2addr_b32 v1, v9, v10 offset0:4 offset1:5
	;; [unrolled: 1-line block ×7, first 2 shown]
	v_lshrrev_b32_e32 v1, 5, v36
	v_lshrrev_b32_e32 v4, 5, v34
	v_lshrrev_b32_e32 v5, 5, v33
	v_lshrrev_b32_e32 v8, 5, v32
	v_lshrrev_b32_e32 v9, 5, v31
	v_lshrrev_b32_e32 v10, 5, v30
	v_add_lshl_u32 v1, v1, v0, 2
	v_lshrrev_b32_e32 v11, 5, v29
	v_add_lshl_u32 v4, v4, v0, 2
	v_add_lshl_u32 v5, v5, v0, 2
	;; [unrolled: 1-line block ×5, first 2 shown]
	s_waitcnt lgkmcnt(0)
	s_barrier
	buffer_gl0_inv
	v_lshrrev_b32_e32 v14, 5, v27
	ds_load_b32 v15, v3
	ds_load_b32 v16, v1 offset:1024
	ds_load_b32 v17, v2 offset:2048
	;; [unrolled: 1-line block ×7, first 2 shown]
	v_lshrrev_b32_e32 v4, 5, v26
	v_add_lshl_u32 v1, v11, v0, 2
	v_add_lshl_u32 v2, v12, v0, 2
	v_lshrrev_b32_e32 v5, 5, v25
	v_lshrrev_b32_e32 v11, 5, v24
	;; [unrolled: 1-line block ×3, first 2 shown]
	v_add_lshl_u32 v3, v14, v0, 2
	v_add_lshl_u32 v4, v4, v0, 2
	;; [unrolled: 1-line block ×6, first 2 shown]
	ds_load_b32 v13, v1 offset:8192
	ds_load_b32 v14, v2 offset:9216
	;; [unrolled: 1-line block ×8, first 2 shown]
	v_add_co_u32 v2, s3, s0, v6
	s_delay_alu instid0(VALU_DEP_1) | instskip(SKIP_1) | instid1(VALU_DEP_3)
	v_add_co_ci_u32_e64 v3, null, s1, 0, s3
	v_mov_b32_e32 v1, 0
	v_add_co_u32 v4, vcc_lo, 0x1000, v2
	s_delay_alu instid0(VALU_DEP_3)
	v_add_co_ci_u32_e32 v5, vcc_lo, 0, v3, vcc_lo
	s_waitcnt lgkmcnt(15)
	flat_store_b32 v[2:3], v15
	s_waitcnt lgkmcnt(15)
	flat_store_b32 v[2:3], v16 offset:1024
	s_waitcnt lgkmcnt(15)
	flat_store_b32 v[2:3], v17 offset:2048
	;; [unrolled: 2-line block ×3, first 2 shown]
	s_waitcnt lgkmcnt(15)
	flat_store_b32 v[4:5], v19
	s_waitcnt lgkmcnt(15)
	flat_store_b32 v[4:5], v8 offset:1024
	s_waitcnt lgkmcnt(15)
	flat_store_b32 v[4:5], v9 offset:2048
	;; [unrolled: 2-line block ×3, first 2 shown]
	v_add_co_u32 v4, vcc_lo, 0x2000, v2
	v_add_co_ci_u32_e32 v5, vcc_lo, 0, v3, vcc_lo
	v_add_co_u32 v2, vcc_lo, 0x3000, v2
	s_or_b32 s2, s2, exec_lo
	v_add_co_ci_u32_e32 v3, vcc_lo, 0, v3, vcc_lo
	s_waitcnt lgkmcnt(15)
	flat_store_b32 v[4:5], v13
	s_waitcnt lgkmcnt(15)
	flat_store_b32 v[4:5], v14 offset:1024
	s_waitcnt lgkmcnt(15)
	flat_store_b32 v[4:5], v20 offset:2048
	;; [unrolled: 2-line block ×3, first 2 shown]
	s_waitcnt lgkmcnt(15)
	flat_store_b32 v[2:3], v22
	s_waitcnt lgkmcnt(15)
	flat_store_b32 v[2:3], v11 offset:1024
	s_waitcnt lgkmcnt(15)
	flat_store_b32 v[2:3], v12 offset:2048
.LBB43_329:
	s_delay_alu instid0(VALU_DEP_1)
	s_and_saveexec_b32 s3, s2
	s_cbranch_execnz .LBB43_331
; %bb.330:
	s_endpgm
.LBB43_331:
	s_waitcnt lgkmcnt(0)
	v_lshlrev_b64 v[0:1], 2, v[0:1]
	s_delay_alu instid0(VALU_DEP_1) | instskip(NEXT) | instid1(VALU_DEP_2)
	v_add_co_u32 v0, vcc_lo, s0, v0
	v_add_co_ci_u32_e32 v1, vcc_lo, s1, v1, vcc_lo
	s_delay_alu instid0(VALU_DEP_2) | instskip(NEXT) | instid1(VALU_DEP_2)
	v_add_co_u32 v0, vcc_lo, 0x3000, v0
	v_add_co_ci_u32_e32 v1, vcc_lo, 0, v1, vcc_lo
	flat_store_b32 v[0:1], v38 offset:3072
	s_endpgm
.LBB43_332:
	v_add_nc_u32_e32 v1, -1, v0
	s_delay_alu instid0(VALU_DEP_1) | instskip(NEXT) | instid1(VALU_DEP_1)
	v_lshrrev_b32_e32 v2, 5, v1
	v_add_lshl_u32 v1, v2, v1, 3
	ds_load_b32 v1, v1
	s_or_b32 exec_lo, exec_lo, s16
	s_and_saveexec_b32 s16, s3
	s_cbranch_execz .LBB43_306
.LBB43_333:
	v_dual_mov_b32 v2, 0 :: v_dual_and_b32 v3, 0xff, v36
	;;#ASMSTART
	;;#ASMEND
	s_delay_alu instid0(VALU_DEP_1) | instskip(SKIP_1) | instid1(VALU_DEP_1)
	v_cmp_eq_u64_e64 s3, 0, v[2:3]
	s_waitcnt lgkmcnt(0)
	v_cndmask_b32_e64 v1, 0, v1, s3
	s_delay_alu instid0(VALU_DEP_1) | instskip(NEXT) | instid1(VALU_DEP_1)
	v_add_nc_u32_e32 v35, v1, v35
	v_cndmask_b32_e32 v1, 0, v35, vcc_lo
	s_delay_alu instid0(VALU_DEP_1) | instskip(NEXT) | instid1(VALU_DEP_1)
	v_add_nc_u32_e32 v4, v1, v37
	v_cndmask_b32_e64 v1, 0, v4, s0
	s_delay_alu instid0(VALU_DEP_1) | instskip(NEXT) | instid1(VALU_DEP_1)
	v_add_nc_u32_e32 v5, v1, v39
	v_cndmask_b32_e64 v1, 0, v5, s1
	;; [unrolled: 3-line block ×14, first 2 shown]
	s_delay_alu instid0(VALU_DEP_1)
	v_add_nc_u32_e32 v22, v1, v6
	s_or_b32 exec_lo, exec_lo, s16
	s_and_saveexec_b32 s0, s2
	s_cbranch_execnz .LBB43_307
	s_branch .LBB43_308
.LBB43_334:
	v_add_lshl_u32 v53, v12, v0, 2
	ds_load_b32 v53, v53
	s_waitcnt lgkmcnt(0)
	flat_store_b32 v[2:3], v53
	s_or_b32 exec_lo, exec_lo, s3
	s_delay_alu instid0(SALU_CYCLE_1)
	s_mov_b32 s3, exec_lo
	v_cmpx_gt_u32_e64 s2, v36
	s_cbranch_execz .LBB43_312
.LBB43_335:
	s_waitcnt lgkmcnt(14)
	flat_store_b32 v[2:3], v52 offset:1024
	s_or_b32 exec_lo, exec_lo, s3
	s_delay_alu instid0(SALU_CYCLE_1)
	s_mov_b32 s3, exec_lo
	v_cmpx_gt_u32_e64 s2, v35
	s_cbranch_execz .LBB43_313
.LBB43_336:
	s_waitcnt lgkmcnt(13)
	flat_store_b32 v[2:3], v51 offset:2048
	s_or_b32 exec_lo, exec_lo, s3
	s_delay_alu instid0(SALU_CYCLE_1)
	s_mov_b32 s3, exec_lo
	v_cmpx_gt_u32_e64 s2, v34
	s_cbranch_execz .LBB43_314
.LBB43_337:
	s_waitcnt lgkmcnt(12)
	flat_store_b32 v[2:3], v50 offset:3072
	s_or_b32 exec_lo, exec_lo, s3
	s_delay_alu instid0(SALU_CYCLE_1)
	s_mov_b32 s3, exec_lo
	v_cmpx_gt_u32_e64 s2, v33
	s_cbranch_execz .LBB43_315
.LBB43_338:
	s_waitcnt lgkmcnt(12)
	v_add_co_u32 v50, vcc_lo, 0x1000, v2
	v_add_co_ci_u32_e32 v51, vcc_lo, 0, v3, vcc_lo
	s_waitcnt lgkmcnt(11)
	flat_store_b32 v[50:51], v49
	s_or_b32 exec_lo, exec_lo, s3
	s_delay_alu instid0(SALU_CYCLE_1)
	s_mov_b32 s3, exec_lo
	v_cmpx_gt_u32_e64 s2, v32
	s_cbranch_execz .LBB43_316
.LBB43_339:
	s_waitcnt lgkmcnt(11)
	v_add_co_u32 v49, vcc_lo, 0x1000, v2
	v_add_co_ci_u32_e32 v50, vcc_lo, 0, v3, vcc_lo
	s_waitcnt lgkmcnt(10)
	flat_store_b32 v[49:50], v48 offset:1024
	s_or_b32 exec_lo, exec_lo, s3
	s_delay_alu instid0(SALU_CYCLE_1)
	s_mov_b32 s3, exec_lo
	v_cmpx_gt_u32_e64 s2, v31
	s_cbranch_execz .LBB43_317
.LBB43_340:
	s_waitcnt lgkmcnt(10)
	v_add_co_u32 v48, vcc_lo, 0x1000, v2
	v_add_co_ci_u32_e32 v49, vcc_lo, 0, v3, vcc_lo
	s_waitcnt lgkmcnt(9)
	flat_store_b32 v[48:49], v47 offset:2048
	s_or_b32 exec_lo, exec_lo, s3
	s_delay_alu instid0(SALU_CYCLE_1)
	s_mov_b32 s3, exec_lo
	v_cmpx_gt_u32_e64 s2, v30
	s_cbranch_execz .LBB43_318
.LBB43_341:
	s_waitcnt lgkmcnt(9)
	v_add_co_u32 v47, vcc_lo, 0x1000, v2
	v_add_co_ci_u32_e32 v48, vcc_lo, 0, v3, vcc_lo
	s_waitcnt lgkmcnt(8)
	flat_store_b32 v[47:48], v46 offset:3072
	s_or_b32 exec_lo, exec_lo, s3
	s_delay_alu instid0(SALU_CYCLE_1)
	s_mov_b32 s3, exec_lo
	v_cmpx_gt_u32_e64 s2, v29
	s_cbranch_execz .LBB43_319
.LBB43_342:
	s_waitcnt lgkmcnt(8)
	v_add_co_u32 v46, vcc_lo, 0x2000, v2
	v_add_co_ci_u32_e32 v47, vcc_lo, 0, v3, vcc_lo
	s_waitcnt lgkmcnt(7)
	flat_store_b32 v[46:47], v44
	s_or_b32 exec_lo, exec_lo, s3
	s_delay_alu instid0(SALU_CYCLE_1)
	s_mov_b32 s3, exec_lo
	v_cmpx_gt_u32_e64 s2, v28
	s_cbranch_execz .LBB43_320
.LBB43_343:
	s_waitcnt lgkmcnt(8)
	v_add_co_u32 v46, vcc_lo, 0x2000, v2
	v_add_co_ci_u32_e32 v47, vcc_lo, 0, v3, vcc_lo
	s_waitcnt lgkmcnt(6)
	flat_store_b32 v[46:47], v45 offset:1024
	s_or_b32 exec_lo, exec_lo, s3
	s_delay_alu instid0(SALU_CYCLE_1)
	s_mov_b32 s3, exec_lo
	v_cmpx_gt_u32_e64 s2, v27
	s_cbranch_execz .LBB43_321
.LBB43_344:
	s_waitcnt lgkmcnt(7)
	v_add_co_u32 v44, vcc_lo, 0x2000, v2
	s_waitcnt lgkmcnt(6)
	v_add_co_ci_u32_e32 v45, vcc_lo, 0, v3, vcc_lo
	s_waitcnt lgkmcnt(5)
	flat_store_b32 v[44:45], v43 offset:2048
	s_or_b32 exec_lo, exec_lo, s3
	s_delay_alu instid0(SALU_CYCLE_1)
	s_mov_b32 s3, exec_lo
	v_cmpx_gt_u32_e64 s2, v26
	s_cbranch_execz .LBB43_322
.LBB43_345:
	s_waitcnt lgkmcnt(5)
	v_add_co_u32 v43, vcc_lo, 0x2000, v2
	v_add_co_ci_u32_e32 v44, vcc_lo, 0, v3, vcc_lo
	s_waitcnt lgkmcnt(4)
	flat_store_b32 v[43:44], v42 offset:3072
	s_or_b32 exec_lo, exec_lo, s3
	s_delay_alu instid0(SALU_CYCLE_1)
	s_mov_b32 s3, exec_lo
	v_cmpx_gt_u32_e64 s2, v25
	s_cbranch_execz .LBB43_323
.LBB43_346:
	s_waitcnt lgkmcnt(4)
	v_add_co_u32 v42, vcc_lo, 0x3000, v2
	v_add_co_ci_u32_e32 v43, vcc_lo, 0, v3, vcc_lo
	s_waitcnt lgkmcnt(3)
	flat_store_b32 v[42:43], v41
	s_or_b32 exec_lo, exec_lo, s3
	s_delay_alu instid0(SALU_CYCLE_1)
	s_mov_b32 s3, exec_lo
	v_cmpx_gt_u32_e64 s2, v24
	s_cbranch_execz .LBB43_324
.LBB43_347:
	s_waitcnt lgkmcnt(3)
	v_add_co_u32 v41, vcc_lo, 0x3000, v2
	v_add_co_ci_u32_e32 v42, vcc_lo, 0, v3, vcc_lo
	s_waitcnt lgkmcnt(2)
	flat_store_b32 v[41:42], v40 offset:1024
	s_or_b32 exec_lo, exec_lo, s3
	s_delay_alu instid0(SALU_CYCLE_1)
	s_mov_b32 s3, exec_lo
	v_cmpx_gt_u32_e64 s2, v13
	s_cbranch_execnz .LBB43_325
	s_branch .LBB43_326
.LBB43_348:
                                        ; implicit-def: $vgpr33_vgpr34
	s_branch .LBB43_253
.LBB43_349:
                                        ; implicit-def: $vgpr33_vgpr34
	s_branch .LBB43_112
.LBB43_350:
                                        ; implicit-def: $vgpr33_vgpr34
	s_branch .LBB43_249
	.section	.rodata,"a",@progbits
	.p2align	6, 0x0
	.amdhsa_kernel _ZN7rocprim17ROCPRIM_400000_NS6detail17trampoline_kernelINS0_14default_configENS1_27scan_by_key_config_selectorImiEEZZNS1_16scan_by_key_implILNS1_25lookback_scan_determinismE0ELb0ES3_N6thrust23THRUST_200600_302600_NS18transform_iteratorI9row_indexNS9_17counting_iteratorImNS9_11use_defaultESD_SD_EESD_SD_EENS9_6detail15normal_iteratorINS9_10device_ptrIiEEEESK_iNS9_4plusIvEENS9_8equal_toIvEEiEE10hipError_tPvRmT2_T3_T4_T5_mT6_T7_P12ihipStream_tbENKUlT_T0_E_clISt17integral_constantIbLb0EES14_IbLb1EEEEDaS10_S11_EUlS10_E_NS1_11comp_targetILNS1_3genE9ELNS1_11target_archE1100ELNS1_3gpuE3ELNS1_3repE0EEENS1_30default_config_static_selectorELNS0_4arch9wavefront6targetE0EEEvT1_
		.amdhsa_group_segment_fixed_size 37888
		.amdhsa_private_segment_fixed_size 0
		.amdhsa_kernarg_size 120
		.amdhsa_user_sgpr_count 15
		.amdhsa_user_sgpr_dispatch_ptr 0
		.amdhsa_user_sgpr_queue_ptr 0
		.amdhsa_user_sgpr_kernarg_segment_ptr 1
		.amdhsa_user_sgpr_dispatch_id 0
		.amdhsa_user_sgpr_private_segment_size 0
		.amdhsa_wavefront_size32 1
		.amdhsa_uses_dynamic_stack 0
		.amdhsa_enable_private_segment 0
		.amdhsa_system_sgpr_workgroup_id_x 1
		.amdhsa_system_sgpr_workgroup_id_y 0
		.amdhsa_system_sgpr_workgroup_id_z 0
		.amdhsa_system_sgpr_workgroup_info 0
		.amdhsa_system_vgpr_workitem_id 0
		.amdhsa_next_free_vgpr 75
		.amdhsa_next_free_sgpr 60
		.amdhsa_reserve_vcc 1
		.amdhsa_float_round_mode_32 0
		.amdhsa_float_round_mode_16_64 0
		.amdhsa_float_denorm_mode_32 3
		.amdhsa_float_denorm_mode_16_64 3
		.amdhsa_dx10_clamp 1
		.amdhsa_ieee_mode 1
		.amdhsa_fp16_overflow 0
		.amdhsa_workgroup_processor_mode 1
		.amdhsa_memory_ordered 1
		.amdhsa_forward_progress 0
		.amdhsa_shared_vgpr_count 0
		.amdhsa_exception_fp_ieee_invalid_op 0
		.amdhsa_exception_fp_denorm_src 0
		.amdhsa_exception_fp_ieee_div_zero 0
		.amdhsa_exception_fp_ieee_overflow 0
		.amdhsa_exception_fp_ieee_underflow 0
		.amdhsa_exception_fp_ieee_inexact 0
		.amdhsa_exception_int_div_zero 0
	.end_amdhsa_kernel
	.section	.text._ZN7rocprim17ROCPRIM_400000_NS6detail17trampoline_kernelINS0_14default_configENS1_27scan_by_key_config_selectorImiEEZZNS1_16scan_by_key_implILNS1_25lookback_scan_determinismE0ELb0ES3_N6thrust23THRUST_200600_302600_NS18transform_iteratorI9row_indexNS9_17counting_iteratorImNS9_11use_defaultESD_SD_EESD_SD_EENS9_6detail15normal_iteratorINS9_10device_ptrIiEEEESK_iNS9_4plusIvEENS9_8equal_toIvEEiEE10hipError_tPvRmT2_T3_T4_T5_mT6_T7_P12ihipStream_tbENKUlT_T0_E_clISt17integral_constantIbLb0EES14_IbLb1EEEEDaS10_S11_EUlS10_E_NS1_11comp_targetILNS1_3genE9ELNS1_11target_archE1100ELNS1_3gpuE3ELNS1_3repE0EEENS1_30default_config_static_selectorELNS0_4arch9wavefront6targetE0EEEvT1_,"axG",@progbits,_ZN7rocprim17ROCPRIM_400000_NS6detail17trampoline_kernelINS0_14default_configENS1_27scan_by_key_config_selectorImiEEZZNS1_16scan_by_key_implILNS1_25lookback_scan_determinismE0ELb0ES3_N6thrust23THRUST_200600_302600_NS18transform_iteratorI9row_indexNS9_17counting_iteratorImNS9_11use_defaultESD_SD_EESD_SD_EENS9_6detail15normal_iteratorINS9_10device_ptrIiEEEESK_iNS9_4plusIvEENS9_8equal_toIvEEiEE10hipError_tPvRmT2_T3_T4_T5_mT6_T7_P12ihipStream_tbENKUlT_T0_E_clISt17integral_constantIbLb0EES14_IbLb1EEEEDaS10_S11_EUlS10_E_NS1_11comp_targetILNS1_3genE9ELNS1_11target_archE1100ELNS1_3gpuE3ELNS1_3repE0EEENS1_30default_config_static_selectorELNS0_4arch9wavefront6targetE0EEEvT1_,comdat
.Lfunc_end43:
	.size	_ZN7rocprim17ROCPRIM_400000_NS6detail17trampoline_kernelINS0_14default_configENS1_27scan_by_key_config_selectorImiEEZZNS1_16scan_by_key_implILNS1_25lookback_scan_determinismE0ELb0ES3_N6thrust23THRUST_200600_302600_NS18transform_iteratorI9row_indexNS9_17counting_iteratorImNS9_11use_defaultESD_SD_EESD_SD_EENS9_6detail15normal_iteratorINS9_10device_ptrIiEEEESK_iNS9_4plusIvEENS9_8equal_toIvEEiEE10hipError_tPvRmT2_T3_T4_T5_mT6_T7_P12ihipStream_tbENKUlT_T0_E_clISt17integral_constantIbLb0EES14_IbLb1EEEEDaS10_S11_EUlS10_E_NS1_11comp_targetILNS1_3genE9ELNS1_11target_archE1100ELNS1_3gpuE3ELNS1_3repE0EEENS1_30default_config_static_selectorELNS0_4arch9wavefront6targetE0EEEvT1_, .Lfunc_end43-_ZN7rocprim17ROCPRIM_400000_NS6detail17trampoline_kernelINS0_14default_configENS1_27scan_by_key_config_selectorImiEEZZNS1_16scan_by_key_implILNS1_25lookback_scan_determinismE0ELb0ES3_N6thrust23THRUST_200600_302600_NS18transform_iteratorI9row_indexNS9_17counting_iteratorImNS9_11use_defaultESD_SD_EESD_SD_EENS9_6detail15normal_iteratorINS9_10device_ptrIiEEEESK_iNS9_4plusIvEENS9_8equal_toIvEEiEE10hipError_tPvRmT2_T3_T4_T5_mT6_T7_P12ihipStream_tbENKUlT_T0_E_clISt17integral_constantIbLb0EES14_IbLb1EEEEDaS10_S11_EUlS10_E_NS1_11comp_targetILNS1_3genE9ELNS1_11target_archE1100ELNS1_3gpuE3ELNS1_3repE0EEENS1_30default_config_static_selectorELNS0_4arch9wavefront6targetE0EEEvT1_
                                        ; -- End function
	.section	.AMDGPU.csdata,"",@progbits
; Kernel info:
; codeLenInByte = 48956
; NumSgprs: 62
; NumVgprs: 75
; ScratchSize: 0
; MemoryBound: 0
; FloatMode: 240
; IeeeMode: 1
; LDSByteSize: 37888 bytes/workgroup (compile time only)
; SGPRBlocks: 7
; VGPRBlocks: 9
; NumSGPRsForWavesPerEU: 62
; NumVGPRsForWavesPerEU: 75
; Occupancy: 6
; WaveLimiterHint : 1
; COMPUTE_PGM_RSRC2:SCRATCH_EN: 0
; COMPUTE_PGM_RSRC2:USER_SGPR: 15
; COMPUTE_PGM_RSRC2:TRAP_HANDLER: 0
; COMPUTE_PGM_RSRC2:TGID_X_EN: 1
; COMPUTE_PGM_RSRC2:TGID_Y_EN: 0
; COMPUTE_PGM_RSRC2:TGID_Z_EN: 0
; COMPUTE_PGM_RSRC2:TIDIG_COMP_CNT: 0
	.section	.text._ZN7rocprim17ROCPRIM_400000_NS6detail17trampoline_kernelINS0_14default_configENS1_27scan_by_key_config_selectorImiEEZZNS1_16scan_by_key_implILNS1_25lookback_scan_determinismE0ELb0ES3_N6thrust23THRUST_200600_302600_NS18transform_iteratorI9row_indexNS9_17counting_iteratorImNS9_11use_defaultESD_SD_EESD_SD_EENS9_6detail15normal_iteratorINS9_10device_ptrIiEEEESK_iNS9_4plusIvEENS9_8equal_toIvEEiEE10hipError_tPvRmT2_T3_T4_T5_mT6_T7_P12ihipStream_tbENKUlT_T0_E_clISt17integral_constantIbLb0EES14_IbLb1EEEEDaS10_S11_EUlS10_E_NS1_11comp_targetILNS1_3genE8ELNS1_11target_archE1030ELNS1_3gpuE2ELNS1_3repE0EEENS1_30default_config_static_selectorELNS0_4arch9wavefront6targetE0EEEvT1_,"axG",@progbits,_ZN7rocprim17ROCPRIM_400000_NS6detail17trampoline_kernelINS0_14default_configENS1_27scan_by_key_config_selectorImiEEZZNS1_16scan_by_key_implILNS1_25lookback_scan_determinismE0ELb0ES3_N6thrust23THRUST_200600_302600_NS18transform_iteratorI9row_indexNS9_17counting_iteratorImNS9_11use_defaultESD_SD_EESD_SD_EENS9_6detail15normal_iteratorINS9_10device_ptrIiEEEESK_iNS9_4plusIvEENS9_8equal_toIvEEiEE10hipError_tPvRmT2_T3_T4_T5_mT6_T7_P12ihipStream_tbENKUlT_T0_E_clISt17integral_constantIbLb0EES14_IbLb1EEEEDaS10_S11_EUlS10_E_NS1_11comp_targetILNS1_3genE8ELNS1_11target_archE1030ELNS1_3gpuE2ELNS1_3repE0EEENS1_30default_config_static_selectorELNS0_4arch9wavefront6targetE0EEEvT1_,comdat
	.protected	_ZN7rocprim17ROCPRIM_400000_NS6detail17trampoline_kernelINS0_14default_configENS1_27scan_by_key_config_selectorImiEEZZNS1_16scan_by_key_implILNS1_25lookback_scan_determinismE0ELb0ES3_N6thrust23THRUST_200600_302600_NS18transform_iteratorI9row_indexNS9_17counting_iteratorImNS9_11use_defaultESD_SD_EESD_SD_EENS9_6detail15normal_iteratorINS9_10device_ptrIiEEEESK_iNS9_4plusIvEENS9_8equal_toIvEEiEE10hipError_tPvRmT2_T3_T4_T5_mT6_T7_P12ihipStream_tbENKUlT_T0_E_clISt17integral_constantIbLb0EES14_IbLb1EEEEDaS10_S11_EUlS10_E_NS1_11comp_targetILNS1_3genE8ELNS1_11target_archE1030ELNS1_3gpuE2ELNS1_3repE0EEENS1_30default_config_static_selectorELNS0_4arch9wavefront6targetE0EEEvT1_ ; -- Begin function _ZN7rocprim17ROCPRIM_400000_NS6detail17trampoline_kernelINS0_14default_configENS1_27scan_by_key_config_selectorImiEEZZNS1_16scan_by_key_implILNS1_25lookback_scan_determinismE0ELb0ES3_N6thrust23THRUST_200600_302600_NS18transform_iteratorI9row_indexNS9_17counting_iteratorImNS9_11use_defaultESD_SD_EESD_SD_EENS9_6detail15normal_iteratorINS9_10device_ptrIiEEEESK_iNS9_4plusIvEENS9_8equal_toIvEEiEE10hipError_tPvRmT2_T3_T4_T5_mT6_T7_P12ihipStream_tbENKUlT_T0_E_clISt17integral_constantIbLb0EES14_IbLb1EEEEDaS10_S11_EUlS10_E_NS1_11comp_targetILNS1_3genE8ELNS1_11target_archE1030ELNS1_3gpuE2ELNS1_3repE0EEENS1_30default_config_static_selectorELNS0_4arch9wavefront6targetE0EEEvT1_
	.globl	_ZN7rocprim17ROCPRIM_400000_NS6detail17trampoline_kernelINS0_14default_configENS1_27scan_by_key_config_selectorImiEEZZNS1_16scan_by_key_implILNS1_25lookback_scan_determinismE0ELb0ES3_N6thrust23THRUST_200600_302600_NS18transform_iteratorI9row_indexNS9_17counting_iteratorImNS9_11use_defaultESD_SD_EESD_SD_EENS9_6detail15normal_iteratorINS9_10device_ptrIiEEEESK_iNS9_4plusIvEENS9_8equal_toIvEEiEE10hipError_tPvRmT2_T3_T4_T5_mT6_T7_P12ihipStream_tbENKUlT_T0_E_clISt17integral_constantIbLb0EES14_IbLb1EEEEDaS10_S11_EUlS10_E_NS1_11comp_targetILNS1_3genE8ELNS1_11target_archE1030ELNS1_3gpuE2ELNS1_3repE0EEENS1_30default_config_static_selectorELNS0_4arch9wavefront6targetE0EEEvT1_
	.p2align	8
	.type	_ZN7rocprim17ROCPRIM_400000_NS6detail17trampoline_kernelINS0_14default_configENS1_27scan_by_key_config_selectorImiEEZZNS1_16scan_by_key_implILNS1_25lookback_scan_determinismE0ELb0ES3_N6thrust23THRUST_200600_302600_NS18transform_iteratorI9row_indexNS9_17counting_iteratorImNS9_11use_defaultESD_SD_EESD_SD_EENS9_6detail15normal_iteratorINS9_10device_ptrIiEEEESK_iNS9_4plusIvEENS9_8equal_toIvEEiEE10hipError_tPvRmT2_T3_T4_T5_mT6_T7_P12ihipStream_tbENKUlT_T0_E_clISt17integral_constantIbLb0EES14_IbLb1EEEEDaS10_S11_EUlS10_E_NS1_11comp_targetILNS1_3genE8ELNS1_11target_archE1030ELNS1_3gpuE2ELNS1_3repE0EEENS1_30default_config_static_selectorELNS0_4arch9wavefront6targetE0EEEvT1_,@function
_ZN7rocprim17ROCPRIM_400000_NS6detail17trampoline_kernelINS0_14default_configENS1_27scan_by_key_config_selectorImiEEZZNS1_16scan_by_key_implILNS1_25lookback_scan_determinismE0ELb0ES3_N6thrust23THRUST_200600_302600_NS18transform_iteratorI9row_indexNS9_17counting_iteratorImNS9_11use_defaultESD_SD_EESD_SD_EENS9_6detail15normal_iteratorINS9_10device_ptrIiEEEESK_iNS9_4plusIvEENS9_8equal_toIvEEiEE10hipError_tPvRmT2_T3_T4_T5_mT6_T7_P12ihipStream_tbENKUlT_T0_E_clISt17integral_constantIbLb0EES14_IbLb1EEEEDaS10_S11_EUlS10_E_NS1_11comp_targetILNS1_3genE8ELNS1_11target_archE1030ELNS1_3gpuE2ELNS1_3repE0EEENS1_30default_config_static_selectorELNS0_4arch9wavefront6targetE0EEEvT1_: ; @_ZN7rocprim17ROCPRIM_400000_NS6detail17trampoline_kernelINS0_14default_configENS1_27scan_by_key_config_selectorImiEEZZNS1_16scan_by_key_implILNS1_25lookback_scan_determinismE0ELb0ES3_N6thrust23THRUST_200600_302600_NS18transform_iteratorI9row_indexNS9_17counting_iteratorImNS9_11use_defaultESD_SD_EESD_SD_EENS9_6detail15normal_iteratorINS9_10device_ptrIiEEEESK_iNS9_4plusIvEENS9_8equal_toIvEEiEE10hipError_tPvRmT2_T3_T4_T5_mT6_T7_P12ihipStream_tbENKUlT_T0_E_clISt17integral_constantIbLb0EES14_IbLb1EEEEDaS10_S11_EUlS10_E_NS1_11comp_targetILNS1_3genE8ELNS1_11target_archE1030ELNS1_3gpuE2ELNS1_3repE0EEENS1_30default_config_static_selectorELNS0_4arch9wavefront6targetE0EEEvT1_
; %bb.0:
	.section	.rodata,"a",@progbits
	.p2align	6, 0x0
	.amdhsa_kernel _ZN7rocprim17ROCPRIM_400000_NS6detail17trampoline_kernelINS0_14default_configENS1_27scan_by_key_config_selectorImiEEZZNS1_16scan_by_key_implILNS1_25lookback_scan_determinismE0ELb0ES3_N6thrust23THRUST_200600_302600_NS18transform_iteratorI9row_indexNS9_17counting_iteratorImNS9_11use_defaultESD_SD_EESD_SD_EENS9_6detail15normal_iteratorINS9_10device_ptrIiEEEESK_iNS9_4plusIvEENS9_8equal_toIvEEiEE10hipError_tPvRmT2_T3_T4_T5_mT6_T7_P12ihipStream_tbENKUlT_T0_E_clISt17integral_constantIbLb0EES14_IbLb1EEEEDaS10_S11_EUlS10_E_NS1_11comp_targetILNS1_3genE8ELNS1_11target_archE1030ELNS1_3gpuE2ELNS1_3repE0EEENS1_30default_config_static_selectorELNS0_4arch9wavefront6targetE0EEEvT1_
		.amdhsa_group_segment_fixed_size 0
		.amdhsa_private_segment_fixed_size 0
		.amdhsa_kernarg_size 120
		.amdhsa_user_sgpr_count 15
		.amdhsa_user_sgpr_dispatch_ptr 0
		.amdhsa_user_sgpr_queue_ptr 0
		.amdhsa_user_sgpr_kernarg_segment_ptr 1
		.amdhsa_user_sgpr_dispatch_id 0
		.amdhsa_user_sgpr_private_segment_size 0
		.amdhsa_wavefront_size32 1
		.amdhsa_uses_dynamic_stack 0
		.amdhsa_enable_private_segment 0
		.amdhsa_system_sgpr_workgroup_id_x 1
		.amdhsa_system_sgpr_workgroup_id_y 0
		.amdhsa_system_sgpr_workgroup_id_z 0
		.amdhsa_system_sgpr_workgroup_info 0
		.amdhsa_system_vgpr_workitem_id 0
		.amdhsa_next_free_vgpr 1
		.amdhsa_next_free_sgpr 1
		.amdhsa_reserve_vcc 0
		.amdhsa_float_round_mode_32 0
		.amdhsa_float_round_mode_16_64 0
		.amdhsa_float_denorm_mode_32 3
		.amdhsa_float_denorm_mode_16_64 3
		.amdhsa_dx10_clamp 1
		.amdhsa_ieee_mode 1
		.amdhsa_fp16_overflow 0
		.amdhsa_workgroup_processor_mode 1
		.amdhsa_memory_ordered 1
		.amdhsa_forward_progress 0
		.amdhsa_shared_vgpr_count 0
		.amdhsa_exception_fp_ieee_invalid_op 0
		.amdhsa_exception_fp_denorm_src 0
		.amdhsa_exception_fp_ieee_div_zero 0
		.amdhsa_exception_fp_ieee_overflow 0
		.amdhsa_exception_fp_ieee_underflow 0
		.amdhsa_exception_fp_ieee_inexact 0
		.amdhsa_exception_int_div_zero 0
	.end_amdhsa_kernel
	.section	.text._ZN7rocprim17ROCPRIM_400000_NS6detail17trampoline_kernelINS0_14default_configENS1_27scan_by_key_config_selectorImiEEZZNS1_16scan_by_key_implILNS1_25lookback_scan_determinismE0ELb0ES3_N6thrust23THRUST_200600_302600_NS18transform_iteratorI9row_indexNS9_17counting_iteratorImNS9_11use_defaultESD_SD_EESD_SD_EENS9_6detail15normal_iteratorINS9_10device_ptrIiEEEESK_iNS9_4plusIvEENS9_8equal_toIvEEiEE10hipError_tPvRmT2_T3_T4_T5_mT6_T7_P12ihipStream_tbENKUlT_T0_E_clISt17integral_constantIbLb0EES14_IbLb1EEEEDaS10_S11_EUlS10_E_NS1_11comp_targetILNS1_3genE8ELNS1_11target_archE1030ELNS1_3gpuE2ELNS1_3repE0EEENS1_30default_config_static_selectorELNS0_4arch9wavefront6targetE0EEEvT1_,"axG",@progbits,_ZN7rocprim17ROCPRIM_400000_NS6detail17trampoline_kernelINS0_14default_configENS1_27scan_by_key_config_selectorImiEEZZNS1_16scan_by_key_implILNS1_25lookback_scan_determinismE0ELb0ES3_N6thrust23THRUST_200600_302600_NS18transform_iteratorI9row_indexNS9_17counting_iteratorImNS9_11use_defaultESD_SD_EESD_SD_EENS9_6detail15normal_iteratorINS9_10device_ptrIiEEEESK_iNS9_4plusIvEENS9_8equal_toIvEEiEE10hipError_tPvRmT2_T3_T4_T5_mT6_T7_P12ihipStream_tbENKUlT_T0_E_clISt17integral_constantIbLb0EES14_IbLb1EEEEDaS10_S11_EUlS10_E_NS1_11comp_targetILNS1_3genE8ELNS1_11target_archE1030ELNS1_3gpuE2ELNS1_3repE0EEENS1_30default_config_static_selectorELNS0_4arch9wavefront6targetE0EEEvT1_,comdat
.Lfunc_end44:
	.size	_ZN7rocprim17ROCPRIM_400000_NS6detail17trampoline_kernelINS0_14default_configENS1_27scan_by_key_config_selectorImiEEZZNS1_16scan_by_key_implILNS1_25lookback_scan_determinismE0ELb0ES3_N6thrust23THRUST_200600_302600_NS18transform_iteratorI9row_indexNS9_17counting_iteratorImNS9_11use_defaultESD_SD_EESD_SD_EENS9_6detail15normal_iteratorINS9_10device_ptrIiEEEESK_iNS9_4plusIvEENS9_8equal_toIvEEiEE10hipError_tPvRmT2_T3_T4_T5_mT6_T7_P12ihipStream_tbENKUlT_T0_E_clISt17integral_constantIbLb0EES14_IbLb1EEEEDaS10_S11_EUlS10_E_NS1_11comp_targetILNS1_3genE8ELNS1_11target_archE1030ELNS1_3gpuE2ELNS1_3repE0EEENS1_30default_config_static_selectorELNS0_4arch9wavefront6targetE0EEEvT1_, .Lfunc_end44-_ZN7rocprim17ROCPRIM_400000_NS6detail17trampoline_kernelINS0_14default_configENS1_27scan_by_key_config_selectorImiEEZZNS1_16scan_by_key_implILNS1_25lookback_scan_determinismE0ELb0ES3_N6thrust23THRUST_200600_302600_NS18transform_iteratorI9row_indexNS9_17counting_iteratorImNS9_11use_defaultESD_SD_EESD_SD_EENS9_6detail15normal_iteratorINS9_10device_ptrIiEEEESK_iNS9_4plusIvEENS9_8equal_toIvEEiEE10hipError_tPvRmT2_T3_T4_T5_mT6_T7_P12ihipStream_tbENKUlT_T0_E_clISt17integral_constantIbLb0EES14_IbLb1EEEEDaS10_S11_EUlS10_E_NS1_11comp_targetILNS1_3genE8ELNS1_11target_archE1030ELNS1_3gpuE2ELNS1_3repE0EEENS1_30default_config_static_selectorELNS0_4arch9wavefront6targetE0EEEvT1_
                                        ; -- End function
	.section	.AMDGPU.csdata,"",@progbits
; Kernel info:
; codeLenInByte = 0
; NumSgprs: 0
; NumVgprs: 0
; ScratchSize: 0
; MemoryBound: 0
; FloatMode: 240
; IeeeMode: 1
; LDSByteSize: 0 bytes/workgroup (compile time only)
; SGPRBlocks: 0
; VGPRBlocks: 0
; NumSGPRsForWavesPerEU: 1
; NumVGPRsForWavesPerEU: 1
; Occupancy: 16
; WaveLimiterHint : 0
; COMPUTE_PGM_RSRC2:SCRATCH_EN: 0
; COMPUTE_PGM_RSRC2:USER_SGPR: 15
; COMPUTE_PGM_RSRC2:TRAP_HANDLER: 0
; COMPUTE_PGM_RSRC2:TGID_X_EN: 1
; COMPUTE_PGM_RSRC2:TGID_Y_EN: 0
; COMPUTE_PGM_RSRC2:TGID_Z_EN: 0
; COMPUTE_PGM_RSRC2:TIDIG_COMP_CNT: 0
	.section	.text._ZN6thrust23THRUST_200600_302600_NS11hip_rocprim14__parallel_for6kernelILj256ENS1_11__transform17unary_transform_fINS0_20permutation_iteratorINS0_6detail15normal_iteratorINS0_10device_ptrIiEEEENS0_18transform_iteratorI15transpose_indexNS0_17counting_iteratorImNS0_11use_defaultESF_SF_EESF_SF_EEEESB_NS4_14no_stencil_tagENS1_8identityENS4_21always_true_predicateEEExLj1EEEvT0_T1_SO_,"axG",@progbits,_ZN6thrust23THRUST_200600_302600_NS11hip_rocprim14__parallel_for6kernelILj256ENS1_11__transform17unary_transform_fINS0_20permutation_iteratorINS0_6detail15normal_iteratorINS0_10device_ptrIiEEEENS0_18transform_iteratorI15transpose_indexNS0_17counting_iteratorImNS0_11use_defaultESF_SF_EESF_SF_EEEESB_NS4_14no_stencil_tagENS1_8identityENS4_21always_true_predicateEEExLj1EEEvT0_T1_SO_,comdat
	.protected	_ZN6thrust23THRUST_200600_302600_NS11hip_rocprim14__parallel_for6kernelILj256ENS1_11__transform17unary_transform_fINS0_20permutation_iteratorINS0_6detail15normal_iteratorINS0_10device_ptrIiEEEENS0_18transform_iteratorI15transpose_indexNS0_17counting_iteratorImNS0_11use_defaultESF_SF_EESF_SF_EEEESB_NS4_14no_stencil_tagENS1_8identityENS4_21always_true_predicateEEExLj1EEEvT0_T1_SO_ ; -- Begin function _ZN6thrust23THRUST_200600_302600_NS11hip_rocprim14__parallel_for6kernelILj256ENS1_11__transform17unary_transform_fINS0_20permutation_iteratorINS0_6detail15normal_iteratorINS0_10device_ptrIiEEEENS0_18transform_iteratorI15transpose_indexNS0_17counting_iteratorImNS0_11use_defaultESF_SF_EESF_SF_EEEESB_NS4_14no_stencil_tagENS1_8identityENS4_21always_true_predicateEEExLj1EEEvT0_T1_SO_
	.globl	_ZN6thrust23THRUST_200600_302600_NS11hip_rocprim14__parallel_for6kernelILj256ENS1_11__transform17unary_transform_fINS0_20permutation_iteratorINS0_6detail15normal_iteratorINS0_10device_ptrIiEEEENS0_18transform_iteratorI15transpose_indexNS0_17counting_iteratorImNS0_11use_defaultESF_SF_EESF_SF_EEEESB_NS4_14no_stencil_tagENS1_8identityENS4_21always_true_predicateEEExLj1EEEvT0_T1_SO_
	.p2align	8
	.type	_ZN6thrust23THRUST_200600_302600_NS11hip_rocprim14__parallel_for6kernelILj256ENS1_11__transform17unary_transform_fINS0_20permutation_iteratorINS0_6detail15normal_iteratorINS0_10device_ptrIiEEEENS0_18transform_iteratorI15transpose_indexNS0_17counting_iteratorImNS0_11use_defaultESF_SF_EESF_SF_EEEESB_NS4_14no_stencil_tagENS1_8identityENS4_21always_true_predicateEEExLj1EEEvT0_T1_SO_,@function
_ZN6thrust23THRUST_200600_302600_NS11hip_rocprim14__parallel_for6kernelILj256ENS1_11__transform17unary_transform_fINS0_20permutation_iteratorINS0_6detail15normal_iteratorINS0_10device_ptrIiEEEENS0_18transform_iteratorI15transpose_indexNS0_17counting_iteratorImNS0_11use_defaultESF_SF_EESF_SF_EEEESB_NS4_14no_stencil_tagENS1_8identityENS4_21always_true_predicateEEExLj1EEEvT0_T1_SO_: ; @_ZN6thrust23THRUST_200600_302600_NS11hip_rocprim14__parallel_for6kernelILj256ENS1_11__transform17unary_transform_fINS0_20permutation_iteratorINS0_6detail15normal_iteratorINS0_10device_ptrIiEEEENS0_18transform_iteratorI15transpose_indexNS0_17counting_iteratorImNS0_11use_defaultESF_SF_EESF_SF_EEEESB_NS4_14no_stencil_tagENS1_8identityENS4_21always_true_predicateEEExLj1EEEvT0_T1_SO_
; %bb.0:
	s_load_b128 s[4:7], s[0:1], 0x30
	s_lshl_b32 s2, s15, 8
	s_waitcnt lgkmcnt(0)
	s_add_u32 s2, s2, s6
	s_addc_u32 s3, 0, s7
	s_sub_u32 s4, s4, s2
	s_subb_u32 s5, s5, s3
	s_delay_alu instid0(SALU_CYCLE_1) | instskip(NEXT) | instid1(VALU_DEP_1)
	v_cmp_gt_i64_e64 s5, 0x100, s[4:5]
	s_and_b32 s5, s5, exec_lo
	s_cselect_b32 s4, s4, 0x100
	s_delay_alu instid0(SALU_CYCLE_1) | instskip(SKIP_2) | instid1(SALU_CYCLE_1)
	v_cmp_gt_u32_e32 vcc_lo, s4, v0
	s_cmpk_eq_i32 s4, 0x100
	s_cselect_b32 s4, -1, 0
	s_or_b32 s4, s4, vcc_lo
	s_delay_alu instid0(SALU_CYCLE_1)
	s_and_saveexec_b32 s5, s4
	s_cbranch_execz .LBB45_6
; %bb.1:
	s_load_b256 s[4:11], s[0:1], 0x0
	v_add_co_u32 v0, s2, s2, v0
	s_delay_alu instid0(VALU_DEP_1)
	v_add_co_ci_u32_e64 v1, null, s3, 0, s2
	s_load_b64 s[2:3], s[0:1], 0x20
	v_mov_b32_e32 v2, 0
	s_waitcnt lgkmcnt(0)
	v_add_co_u32 v4, vcc_lo, s4, v0
	v_add_co_ci_u32_e32 v5, vcc_lo, s5, v1, vcc_lo
	s_delay_alu instid0(VALU_DEP_1) | instskip(NEXT) | instid1(VALU_DEP_1)
	v_or_b32_e32 v3, s9, v5
	v_cmp_ne_u64_e32 vcc_lo, 0, v[2:3]
                                        ; implicit-def: $vgpr2_vgpr3
	s_and_saveexec_b32 s0, vcc_lo
	s_delay_alu instid0(SALU_CYCLE_1)
	s_xor_b32 s1, exec_lo, s0
	s_cbranch_execz .LBB45_3
; %bb.2:
	v_cvt_f32_u32_e32 v2, s8
	v_cvt_f32_u32_e32 v3, s9
	s_sub_u32 s0, 0, s8
	s_subb_u32 s4, 0, s9
	s_delay_alu instid0(VALU_DEP_1) | instskip(NEXT) | instid1(VALU_DEP_1)
	v_fmamk_f32 v2, v3, 0x4f800000, v2
	v_rcp_f32_e32 v2, v2
	s_waitcnt_depctr 0xfff
	v_mul_f32_e32 v2, 0x5f7ffffc, v2
	s_delay_alu instid0(VALU_DEP_1) | instskip(NEXT) | instid1(VALU_DEP_1)
	v_mul_f32_e32 v3, 0x2f800000, v2
	v_trunc_f32_e32 v3, v3
	s_delay_alu instid0(VALU_DEP_1) | instskip(SKIP_1) | instid1(VALU_DEP_2)
	v_fmamk_f32 v2, v3, 0xcf800000, v2
	v_cvt_u32_f32_e32 v3, v3
	v_cvt_u32_f32_e32 v2, v2
	s_delay_alu instid0(VALU_DEP_2) | instskip(NEXT) | instid1(VALU_DEP_2)
	v_mul_lo_u32 v6, s0, v3
	v_mul_hi_u32 v7, s0, v2
	v_mul_lo_u32 v8, s4, v2
	s_delay_alu instid0(VALU_DEP_2) | instskip(SKIP_1) | instid1(VALU_DEP_2)
	v_add_nc_u32_e32 v6, v7, v6
	v_mul_lo_u32 v7, s0, v2
	v_add_nc_u32_e32 v6, v6, v8
	s_delay_alu instid0(VALU_DEP_2) | instskip(NEXT) | instid1(VALU_DEP_2)
	v_mul_hi_u32 v8, v2, v7
	v_mul_lo_u32 v9, v2, v6
	v_mul_hi_u32 v10, v2, v6
	v_mul_hi_u32 v11, v3, v7
	v_mul_lo_u32 v7, v3, v7
	v_mul_hi_u32 v12, v3, v6
	v_mul_lo_u32 v6, v3, v6
	v_add_co_u32 v8, vcc_lo, v8, v9
	v_add_co_ci_u32_e32 v9, vcc_lo, 0, v10, vcc_lo
	s_delay_alu instid0(VALU_DEP_2) | instskip(NEXT) | instid1(VALU_DEP_2)
	v_add_co_u32 v7, vcc_lo, v8, v7
	v_add_co_ci_u32_e32 v7, vcc_lo, v9, v11, vcc_lo
	v_add_co_ci_u32_e32 v8, vcc_lo, 0, v12, vcc_lo
	s_delay_alu instid0(VALU_DEP_2) | instskip(NEXT) | instid1(VALU_DEP_2)
	v_add_co_u32 v6, vcc_lo, v7, v6
	v_add_co_ci_u32_e32 v7, vcc_lo, 0, v8, vcc_lo
	s_delay_alu instid0(VALU_DEP_2) | instskip(NEXT) | instid1(VALU_DEP_2)
	v_add_co_u32 v2, vcc_lo, v2, v6
	v_add_co_ci_u32_e32 v3, vcc_lo, v3, v7, vcc_lo
	s_delay_alu instid0(VALU_DEP_2) | instskip(SKIP_1) | instid1(VALU_DEP_3)
	v_mul_hi_u32 v6, s0, v2
	v_mul_lo_u32 v8, s4, v2
	v_mul_lo_u32 v7, s0, v3
	s_delay_alu instid0(VALU_DEP_1) | instskip(SKIP_1) | instid1(VALU_DEP_2)
	v_add_nc_u32_e32 v6, v6, v7
	v_mul_lo_u32 v7, s0, v2
	v_add_nc_u32_e32 v6, v6, v8
	s_delay_alu instid0(VALU_DEP_2) | instskip(NEXT) | instid1(VALU_DEP_2)
	v_mul_hi_u32 v8, v2, v7
	v_mul_lo_u32 v9, v2, v6
	v_mul_hi_u32 v10, v2, v6
	v_mul_hi_u32 v11, v3, v7
	v_mul_lo_u32 v7, v3, v7
	v_mul_hi_u32 v12, v3, v6
	v_mul_lo_u32 v6, v3, v6
	v_add_co_u32 v8, vcc_lo, v8, v9
	v_add_co_ci_u32_e32 v9, vcc_lo, 0, v10, vcc_lo
	s_delay_alu instid0(VALU_DEP_2) | instskip(NEXT) | instid1(VALU_DEP_2)
	v_add_co_u32 v7, vcc_lo, v8, v7
	v_add_co_ci_u32_e32 v7, vcc_lo, v9, v11, vcc_lo
	v_add_co_ci_u32_e32 v8, vcc_lo, 0, v12, vcc_lo
	s_delay_alu instid0(VALU_DEP_2) | instskip(NEXT) | instid1(VALU_DEP_2)
	v_add_co_u32 v6, vcc_lo, v7, v6
	v_add_co_ci_u32_e32 v7, vcc_lo, 0, v8, vcc_lo
	s_delay_alu instid0(VALU_DEP_2) | instskip(NEXT) | instid1(VALU_DEP_2)
	v_add_co_u32 v8, vcc_lo, v2, v6
	v_add_co_ci_u32_e32 v10, vcc_lo, v3, v7, vcc_lo
	s_delay_alu instid0(VALU_DEP_2) | instskip(SKIP_1) | instid1(VALU_DEP_3)
	v_mul_hi_u32 v11, v4, v8
	v_mad_u64_u32 v[6:7], null, v5, v8, 0
	v_mad_u64_u32 v[2:3], null, v4, v10, 0
	;; [unrolled: 1-line block ×3, first 2 shown]
	s_delay_alu instid0(VALU_DEP_2) | instskip(NEXT) | instid1(VALU_DEP_3)
	v_add_co_u32 v2, vcc_lo, v11, v2
	v_add_co_ci_u32_e32 v3, vcc_lo, 0, v3, vcc_lo
	s_delay_alu instid0(VALU_DEP_2) | instskip(NEXT) | instid1(VALU_DEP_2)
	v_add_co_u32 v2, vcc_lo, v2, v6
	v_add_co_ci_u32_e32 v2, vcc_lo, v3, v7, vcc_lo
	v_add_co_ci_u32_e32 v3, vcc_lo, 0, v9, vcc_lo
	s_delay_alu instid0(VALU_DEP_2) | instskip(NEXT) | instid1(VALU_DEP_2)
	v_add_co_u32 v6, vcc_lo, v2, v8
	v_add_co_ci_u32_e32 v7, vcc_lo, 0, v3, vcc_lo
	s_delay_alu instid0(VALU_DEP_2) | instskip(SKIP_1) | instid1(VALU_DEP_3)
	v_mul_lo_u32 v8, s9, v6
	v_mad_u64_u32 v[2:3], null, s8, v6, 0
	v_mul_lo_u32 v9, s8, v7
	s_delay_alu instid0(VALU_DEP_2) | instskip(NEXT) | instid1(VALU_DEP_2)
	v_sub_co_u32 v2, vcc_lo, v4, v2
	v_add3_u32 v3, v3, v9, v8
	s_delay_alu instid0(VALU_DEP_1) | instskip(NEXT) | instid1(VALU_DEP_1)
	v_sub_nc_u32_e32 v8, v5, v3
	v_subrev_co_ci_u32_e64 v8, s0, s9, v8, vcc_lo
	v_add_co_u32 v9, s0, v6, 2
	s_delay_alu instid0(VALU_DEP_1) | instskip(SKIP_3) | instid1(VALU_DEP_3)
	v_add_co_ci_u32_e64 v10, s0, 0, v7, s0
	v_sub_co_u32 v11, s0, v2, s8
	v_sub_co_ci_u32_e32 v3, vcc_lo, v5, v3, vcc_lo
	v_subrev_co_ci_u32_e64 v8, s0, 0, v8, s0
	v_cmp_le_u32_e32 vcc_lo, s8, v11
	s_delay_alu instid0(VALU_DEP_3) | instskip(SKIP_1) | instid1(VALU_DEP_4)
	v_cmp_eq_u32_e64 s0, s9, v3
	v_cndmask_b32_e64 v11, 0, -1, vcc_lo
	v_cmp_le_u32_e32 vcc_lo, s9, v8
	v_cndmask_b32_e64 v12, 0, -1, vcc_lo
	v_cmp_le_u32_e32 vcc_lo, s8, v2
	;; [unrolled: 2-line block ×3, first 2 shown]
	v_cndmask_b32_e64 v13, 0, -1, vcc_lo
	v_cmp_eq_u32_e32 vcc_lo, s9, v8
	s_delay_alu instid0(VALU_DEP_2) | instskip(SKIP_3) | instid1(VALU_DEP_3)
	v_cndmask_b32_e64 v2, v13, v2, s0
	v_cndmask_b32_e32 v8, v12, v11, vcc_lo
	v_add_co_u32 v11, vcc_lo, v6, 1
	v_add_co_ci_u32_e32 v12, vcc_lo, 0, v7, vcc_lo
	v_cmp_ne_u32_e32 vcc_lo, 0, v8
	s_delay_alu instid0(VALU_DEP_2) | instskip(SKIP_1) | instid1(VALU_DEP_2)
	v_dual_cndmask_b32 v3, v12, v10 :: v_dual_cndmask_b32 v8, v11, v9
	v_cmp_ne_u32_e32 vcc_lo, 0, v2
	v_dual_cndmask_b32 v3, v7, v3 :: v_dual_cndmask_b32 v2, v6, v8
.LBB45_3:
	s_and_not1_saveexec_b32 s0, s1
	s_cbranch_execz .LBB45_5
; %bb.4:
	v_cvt_f32_u32_e32 v2, s8
	s_sub_i32 s1, 0, s8
	s_delay_alu instid0(VALU_DEP_1) | instskip(SKIP_2) | instid1(VALU_DEP_1)
	v_rcp_iflag_f32_e32 v2, v2
	s_waitcnt_depctr 0xfff
	v_mul_f32_e32 v2, 0x4f7ffffe, v2
	v_cvt_u32_f32_e32 v2, v2
	s_delay_alu instid0(VALU_DEP_1) | instskip(NEXT) | instid1(VALU_DEP_1)
	v_mul_lo_u32 v3, s1, v2
	v_mul_hi_u32 v3, v2, v3
	s_delay_alu instid0(VALU_DEP_1) | instskip(NEXT) | instid1(VALU_DEP_1)
	v_add_nc_u32_e32 v2, v2, v3
	v_mul_hi_u32 v2, v4, v2
	s_delay_alu instid0(VALU_DEP_1) | instskip(SKIP_1) | instid1(VALU_DEP_2)
	v_mul_lo_u32 v3, v2, s8
	v_add_nc_u32_e32 v6, 1, v2
	v_sub_nc_u32_e32 v3, v4, v3
	s_delay_alu instid0(VALU_DEP_1) | instskip(SKIP_1) | instid1(VALU_DEP_2)
	v_subrev_nc_u32_e32 v7, s8, v3
	v_cmp_le_u32_e32 vcc_lo, s8, v3
	v_dual_cndmask_b32 v3, v3, v7 :: v_dual_cndmask_b32 v2, v2, v6
	s_delay_alu instid0(VALU_DEP_1) | instskip(NEXT) | instid1(VALU_DEP_2)
	v_cmp_le_u32_e32 vcc_lo, s8, v3
	v_dual_mov_b32 v3, 0 :: v_dual_add_nc_u32 v6, 1, v2
	s_delay_alu instid0(VALU_DEP_1)
	v_cndmask_b32_e32 v2, v2, v6, vcc_lo
.LBB45_5:
	s_or_b32 exec_lo, exec_lo, s0
	s_delay_alu instid0(VALU_DEP_1) | instskip(NEXT) | instid1(VALU_DEP_2)
	v_mul_lo_u32 v8, v3, s8
	v_mul_lo_u32 v9, v2, s9
	v_mad_u64_u32 v[6:7], null, v2, s8, 0
	v_lshlrev_b64 v[2:3], 2, v[2:3]
	v_lshlrev_b64 v[0:1], 2, v[0:1]
	s_delay_alu instid0(VALU_DEP_3) | instskip(NEXT) | instid1(VALU_DEP_4)
	v_add3_u32 v7, v7, v9, v8
	v_sub_co_u32 v6, vcc_lo, v4, v6
	s_delay_alu instid0(VALU_DEP_2) | instskip(NEXT) | instid1(VALU_DEP_2)
	v_sub_co_ci_u32_e32 v7, vcc_lo, v5, v7, vcc_lo
	v_mul_lo_u32 v8, v6, s7
	v_mad_u64_u32 v[4:5], null, v6, s6, 0
	s_delay_alu instid0(VALU_DEP_3) | instskip(NEXT) | instid1(VALU_DEP_1)
	v_mul_lo_u32 v6, v7, s6
	v_add3_u32 v5, v5, v8, v6
	s_delay_alu instid0(VALU_DEP_1) | instskip(NEXT) | instid1(VALU_DEP_1)
	v_lshlrev_b64 v[4:5], 2, v[4:5]
	v_add_co_u32 v4, vcc_lo, s10, v4
	s_delay_alu instid0(VALU_DEP_2) | instskip(NEXT) | instid1(VALU_DEP_2)
	v_add_co_ci_u32_e32 v5, vcc_lo, s11, v5, vcc_lo
	v_add_co_u32 v2, vcc_lo, v4, v2
	s_delay_alu instid0(VALU_DEP_2)
	v_add_co_ci_u32_e32 v3, vcc_lo, v5, v3, vcc_lo
	v_add_co_u32 v0, vcc_lo, s2, v0
	v_add_co_ci_u32_e32 v1, vcc_lo, s3, v1, vcc_lo
	global_load_b32 v2, v[2:3], off
	s_waitcnt vmcnt(0)
	flat_store_b32 v[0:1], v2
.LBB45_6:
	s_endpgm
	.section	.rodata,"a",@progbits
	.p2align	6, 0x0
	.amdhsa_kernel _ZN6thrust23THRUST_200600_302600_NS11hip_rocprim14__parallel_for6kernelILj256ENS1_11__transform17unary_transform_fINS0_20permutation_iteratorINS0_6detail15normal_iteratorINS0_10device_ptrIiEEEENS0_18transform_iteratorI15transpose_indexNS0_17counting_iteratorImNS0_11use_defaultESF_SF_EESF_SF_EEEESB_NS4_14no_stencil_tagENS1_8identityENS4_21always_true_predicateEEExLj1EEEvT0_T1_SO_
		.amdhsa_group_segment_fixed_size 0
		.amdhsa_private_segment_fixed_size 0
		.amdhsa_kernarg_size 64
		.amdhsa_user_sgpr_count 15
		.amdhsa_user_sgpr_dispatch_ptr 0
		.amdhsa_user_sgpr_queue_ptr 0
		.amdhsa_user_sgpr_kernarg_segment_ptr 1
		.amdhsa_user_sgpr_dispatch_id 0
		.amdhsa_user_sgpr_private_segment_size 0
		.amdhsa_wavefront_size32 1
		.amdhsa_uses_dynamic_stack 0
		.amdhsa_enable_private_segment 0
		.amdhsa_system_sgpr_workgroup_id_x 1
		.amdhsa_system_sgpr_workgroup_id_y 0
		.amdhsa_system_sgpr_workgroup_id_z 0
		.amdhsa_system_sgpr_workgroup_info 0
		.amdhsa_system_vgpr_workitem_id 0
		.amdhsa_next_free_vgpr 14
		.amdhsa_next_free_sgpr 16
		.amdhsa_reserve_vcc 1
		.amdhsa_float_round_mode_32 0
		.amdhsa_float_round_mode_16_64 0
		.amdhsa_float_denorm_mode_32 3
		.amdhsa_float_denorm_mode_16_64 3
		.amdhsa_dx10_clamp 1
		.amdhsa_ieee_mode 1
		.amdhsa_fp16_overflow 0
		.amdhsa_workgroup_processor_mode 1
		.amdhsa_memory_ordered 1
		.amdhsa_forward_progress 0
		.amdhsa_shared_vgpr_count 0
		.amdhsa_exception_fp_ieee_invalid_op 0
		.amdhsa_exception_fp_denorm_src 0
		.amdhsa_exception_fp_ieee_div_zero 0
		.amdhsa_exception_fp_ieee_overflow 0
		.amdhsa_exception_fp_ieee_underflow 0
		.amdhsa_exception_fp_ieee_inexact 0
		.amdhsa_exception_int_div_zero 0
	.end_amdhsa_kernel
	.section	.text._ZN6thrust23THRUST_200600_302600_NS11hip_rocprim14__parallel_for6kernelILj256ENS1_11__transform17unary_transform_fINS0_20permutation_iteratorINS0_6detail15normal_iteratorINS0_10device_ptrIiEEEENS0_18transform_iteratorI15transpose_indexNS0_17counting_iteratorImNS0_11use_defaultESF_SF_EESF_SF_EEEESB_NS4_14no_stencil_tagENS1_8identityENS4_21always_true_predicateEEExLj1EEEvT0_T1_SO_,"axG",@progbits,_ZN6thrust23THRUST_200600_302600_NS11hip_rocprim14__parallel_for6kernelILj256ENS1_11__transform17unary_transform_fINS0_20permutation_iteratorINS0_6detail15normal_iteratorINS0_10device_ptrIiEEEENS0_18transform_iteratorI15transpose_indexNS0_17counting_iteratorImNS0_11use_defaultESF_SF_EESF_SF_EEEESB_NS4_14no_stencil_tagENS1_8identityENS4_21always_true_predicateEEExLj1EEEvT0_T1_SO_,comdat
.Lfunc_end45:
	.size	_ZN6thrust23THRUST_200600_302600_NS11hip_rocprim14__parallel_for6kernelILj256ENS1_11__transform17unary_transform_fINS0_20permutation_iteratorINS0_6detail15normal_iteratorINS0_10device_ptrIiEEEENS0_18transform_iteratorI15transpose_indexNS0_17counting_iteratorImNS0_11use_defaultESF_SF_EESF_SF_EEEESB_NS4_14no_stencil_tagENS1_8identityENS4_21always_true_predicateEEExLj1EEEvT0_T1_SO_, .Lfunc_end45-_ZN6thrust23THRUST_200600_302600_NS11hip_rocprim14__parallel_for6kernelILj256ENS1_11__transform17unary_transform_fINS0_20permutation_iteratorINS0_6detail15normal_iteratorINS0_10device_ptrIiEEEENS0_18transform_iteratorI15transpose_indexNS0_17counting_iteratorImNS0_11use_defaultESF_SF_EESF_SF_EEEESB_NS4_14no_stencil_tagENS1_8identityENS4_21always_true_predicateEEExLj1EEEvT0_T1_SO_
                                        ; -- End function
	.section	.AMDGPU.csdata,"",@progbits
; Kernel info:
; codeLenInByte = 1244
; NumSgprs: 18
; NumVgprs: 14
; ScratchSize: 0
; MemoryBound: 0
; FloatMode: 240
; IeeeMode: 1
; LDSByteSize: 0 bytes/workgroup (compile time only)
; SGPRBlocks: 2
; VGPRBlocks: 1
; NumSGPRsForWavesPerEU: 18
; NumVGPRsForWavesPerEU: 14
; Occupancy: 16
; WaveLimiterHint : 0
; COMPUTE_PGM_RSRC2:SCRATCH_EN: 0
; COMPUTE_PGM_RSRC2:USER_SGPR: 15
; COMPUTE_PGM_RSRC2:TRAP_HANDLER: 0
; COMPUTE_PGM_RSRC2:TGID_X_EN: 1
; COMPUTE_PGM_RSRC2:TGID_Y_EN: 0
; COMPUTE_PGM_RSRC2:TGID_Z_EN: 0
; COMPUTE_PGM_RSRC2:TIDIG_COMP_CNT: 0
	.text
	.p2alignl 7, 3214868480
	.fill 96, 4, 3214868480
	.type	__hip_cuid_143871eb350deb2c,@object ; @__hip_cuid_143871eb350deb2c
	.section	.bss,"aw",@nobits
	.globl	__hip_cuid_143871eb350deb2c
__hip_cuid_143871eb350deb2c:
	.byte	0                               ; 0x0
	.size	__hip_cuid_143871eb350deb2c, 1

	.ident	"AMD clang version 19.0.0git (https://github.com/RadeonOpenCompute/llvm-project roc-6.4.0 25133 c7fe45cf4b819c5991fe208aaa96edf142730f1d)"
	.section	".note.GNU-stack","",@progbits
	.addrsig
	.addrsig_sym __hip_cuid_143871eb350deb2c
	.amdgpu_metadata
---
amdhsa.kernels:
  - .args:
      - .offset:         0
        .size:           16
        .value_kind:     by_value
      - .offset:         16
        .size:           8
        .value_kind:     by_value
      - .offset:         24
        .size:           8
        .value_kind:     by_value
    .group_segment_fixed_size: 0
    .kernarg_segment_align: 8
    .kernarg_segment_size: 32
    .language:       OpenCL C
    .language_version:
      - 2
      - 0
    .max_flat_workgroup_size: 256
    .name:           _ZN6thrust23THRUST_200600_302600_NS11hip_rocprim14__parallel_for6kernelILj256ENS1_20__uninitialized_fill7functorINS0_10device_ptrIiEEiEEmLj1EEEvT0_T1_SA_
    .private_segment_fixed_size: 0
    .sgpr_count:     18
    .sgpr_spill_count: 0
    .symbol:         _ZN6thrust23THRUST_200600_302600_NS11hip_rocprim14__parallel_for6kernelILj256ENS1_20__uninitialized_fill7functorINS0_10device_ptrIiEEiEEmLj1EEEvT0_T1_SA_.kd
    .uniform_work_group_size: 1
    .uses_dynamic_stack: false
    .vgpr_count:     3
    .vgpr_spill_count: 0
    .wavefront_size: 32
    .workgroup_processor_mode: 1
  - .args:
      - .address_space:  global
        .offset:         0
        .size:           8
        .value_kind:     global_buffer
      - .offset:         8
        .size:           4
        .value_kind:     by_value
      - .offset:         12
        .size:           4
        .value_kind:     by_value
      - .address_space:  global
        .offset:         16
        .size:           8
        .value_kind:     global_buffer
      - .offset:         24
        .size:           16
        .value_kind:     by_value
      - .actual_access:  write_only
        .address_space:  global
        .offset:         40
        .size:           8
        .value_kind:     global_buffer
      - .offset:         48
        .size:           8
        .value_kind:     by_value
      - .offset:         56
        .size:           4
        .value_kind:     by_value
      - .offset:         60
        .size:           1
        .value_kind:     by_value
      - .offset:         64
        .size:           4
        .value_kind:     hidden_block_count_x
      - .offset:         68
        .size:           4
        .value_kind:     hidden_block_count_y
      - .offset:         72
        .size:           4
        .value_kind:     hidden_block_count_z
      - .offset:         76
        .size:           2
        .value_kind:     hidden_group_size_x
      - .offset:         78
        .size:           2
        .value_kind:     hidden_group_size_y
      - .offset:         80
        .size:           2
        .value_kind:     hidden_group_size_z
      - .offset:         82
        .size:           2
        .value_kind:     hidden_remainder_x
      - .offset:         84
        .size:           2
        .value_kind:     hidden_remainder_y
      - .offset:         86
        .size:           2
        .value_kind:     hidden_remainder_z
      - .offset:         104
        .size:           8
        .value_kind:     hidden_global_offset_x
      - .offset:         112
        .size:           8
        .value_kind:     hidden_global_offset_y
      - .offset:         120
        .size:           8
        .value_kind:     hidden_global_offset_z
      - .offset:         128
        .size:           2
        .value_kind:     hidden_grid_dims
    .group_segment_fixed_size: 0
    .kernarg_segment_align: 8
    .kernarg_segment_size: 320
    .language:       OpenCL C
    .language_version:
      - 2
      - 0
    .max_flat_workgroup_size: 256
    .name:           _ZN7rocprim17ROCPRIM_400000_NS6detail30init_device_scan_by_key_kernelINS1_19lookback_scan_stateINS0_5tupleIJibEEELb0ELb1EEEN6thrust23THRUST_200600_302600_NS18transform_iteratorI9row_indexNS8_17counting_iteratorImNS8_11use_defaultESC_SC_EESC_SC_EEjNS1_16block_id_wrapperIjLb0EEEEEvT_jjPNSH_10value_typeET0_PNSt15iterator_traitsISK_E10value_typeEmT1_T2_
    .private_segment_fixed_size: 0
    .sgpr_count:     18
    .sgpr_spill_count: 0
    .symbol:         _ZN7rocprim17ROCPRIM_400000_NS6detail30init_device_scan_by_key_kernelINS1_19lookback_scan_stateINS0_5tupleIJibEEELb0ELb1EEEN6thrust23THRUST_200600_302600_NS18transform_iteratorI9row_indexNS8_17counting_iteratorImNS8_11use_defaultESC_SC_EESC_SC_EEjNS1_16block_id_wrapperIjLb0EEEEEvT_jjPNSH_10value_typeET0_PNSt15iterator_traitsISK_E10value_typeEmT1_T2_.kd
    .uniform_work_group_size: 1
    .uses_dynamic_stack: false
    .vgpr_count:     20
    .vgpr_spill_count: 0
    .wavefront_size: 32
    .workgroup_processor_mode: 1
  - .args:
      - .address_space:  global
        .offset:         0
        .size:           8
        .value_kind:     global_buffer
      - .offset:         8
        .size:           4
        .value_kind:     by_value
      - .offset:         12
        .size:           4
        .value_kind:     by_value
      - .address_space:  global
        .offset:         16
        .size:           8
        .value_kind:     global_buffer
      - .offset:         24
        .size:           1
        .value_kind:     by_value
      - .offset:         32
        .size:           4
        .value_kind:     hidden_block_count_x
      - .offset:         36
        .size:           4
        .value_kind:     hidden_block_count_y
      - .offset:         40
        .size:           4
        .value_kind:     hidden_block_count_z
      - .offset:         44
        .size:           2
        .value_kind:     hidden_group_size_x
      - .offset:         46
        .size:           2
        .value_kind:     hidden_group_size_y
      - .offset:         48
        .size:           2
        .value_kind:     hidden_group_size_z
      - .offset:         50
        .size:           2
        .value_kind:     hidden_remainder_x
      - .offset:         52
        .size:           2
        .value_kind:     hidden_remainder_y
      - .offset:         54
        .size:           2
        .value_kind:     hidden_remainder_z
      - .offset:         72
        .size:           8
        .value_kind:     hidden_global_offset_x
      - .offset:         80
        .size:           8
        .value_kind:     hidden_global_offset_y
      - .offset:         88
        .size:           8
        .value_kind:     hidden_global_offset_z
      - .offset:         96
        .size:           2
        .value_kind:     hidden_grid_dims
    .group_segment_fixed_size: 0
    .kernarg_segment_align: 8
    .kernarg_segment_size: 288
    .language:       OpenCL C
    .language_version:
      - 2
      - 0
    .max_flat_workgroup_size: 256
    .name:           _ZN7rocprim17ROCPRIM_400000_NS6detail30init_device_scan_by_key_kernelINS1_19lookback_scan_stateINS0_5tupleIJibEEELb0ELb1EEENS1_16block_id_wrapperIjLb0EEEEEvT_jjPNS9_10value_typeET0_
    .private_segment_fixed_size: 0
    .sgpr_count:     18
    .sgpr_spill_count: 0
    .symbol:         _ZN7rocprim17ROCPRIM_400000_NS6detail30init_device_scan_by_key_kernelINS1_19lookback_scan_stateINS0_5tupleIJibEEELb0ELb1EEENS1_16block_id_wrapperIjLb0EEEEEvT_jjPNS9_10value_typeET0_.kd
    .uniform_work_group_size: 1
    .uses_dynamic_stack: false
    .vgpr_count:     9
    .vgpr_spill_count: 0
    .wavefront_size: 32
    .workgroup_processor_mode: 1
  - .args:
      - .offset:         0
        .size:           120
        .value_kind:     by_value
    .group_segment_fixed_size: 0
    .kernarg_segment_align: 8
    .kernarg_segment_size: 120
    .language:       OpenCL C
    .language_version:
      - 2
      - 0
    .max_flat_workgroup_size: 256
    .name:           _ZN7rocprim17ROCPRIM_400000_NS6detail17trampoline_kernelINS0_14default_configENS1_27scan_by_key_config_selectorImiEEZZNS1_16scan_by_key_implILNS1_25lookback_scan_determinismE0ELb0ES3_N6thrust23THRUST_200600_302600_NS18transform_iteratorI9row_indexNS9_17counting_iteratorImNS9_11use_defaultESD_SD_EESD_SD_EENS9_6detail15normal_iteratorINS9_10device_ptrIiEEEESK_iNS9_4plusIvEENS9_8equal_toIvEEiEE10hipError_tPvRmT2_T3_T4_T5_mT6_T7_P12ihipStream_tbENKUlT_T0_E_clISt17integral_constantIbLb0EES15_EEDaS10_S11_EUlS10_E_NS1_11comp_targetILNS1_3genE0ELNS1_11target_archE4294967295ELNS1_3gpuE0ELNS1_3repE0EEENS1_30default_config_static_selectorELNS0_4arch9wavefront6targetE0EEEvT1_
    .private_segment_fixed_size: 0
    .sgpr_count:     0
    .sgpr_spill_count: 0
    .symbol:         _ZN7rocprim17ROCPRIM_400000_NS6detail17trampoline_kernelINS0_14default_configENS1_27scan_by_key_config_selectorImiEEZZNS1_16scan_by_key_implILNS1_25lookback_scan_determinismE0ELb0ES3_N6thrust23THRUST_200600_302600_NS18transform_iteratorI9row_indexNS9_17counting_iteratorImNS9_11use_defaultESD_SD_EESD_SD_EENS9_6detail15normal_iteratorINS9_10device_ptrIiEEEESK_iNS9_4plusIvEENS9_8equal_toIvEEiEE10hipError_tPvRmT2_T3_T4_T5_mT6_T7_P12ihipStream_tbENKUlT_T0_E_clISt17integral_constantIbLb0EES15_EEDaS10_S11_EUlS10_E_NS1_11comp_targetILNS1_3genE0ELNS1_11target_archE4294967295ELNS1_3gpuE0ELNS1_3repE0EEENS1_30default_config_static_selectorELNS0_4arch9wavefront6targetE0EEEvT1_.kd
    .uniform_work_group_size: 1
    .uses_dynamic_stack: false
    .vgpr_count:     0
    .vgpr_spill_count: 0
    .wavefront_size: 32
    .workgroup_processor_mode: 1
  - .args:
      - .offset:         0
        .size:           120
        .value_kind:     by_value
    .group_segment_fixed_size: 0
    .kernarg_segment_align: 8
    .kernarg_segment_size: 120
    .language:       OpenCL C
    .language_version:
      - 2
      - 0
    .max_flat_workgroup_size: 256
    .name:           _ZN7rocprim17ROCPRIM_400000_NS6detail17trampoline_kernelINS0_14default_configENS1_27scan_by_key_config_selectorImiEEZZNS1_16scan_by_key_implILNS1_25lookback_scan_determinismE0ELb0ES3_N6thrust23THRUST_200600_302600_NS18transform_iteratorI9row_indexNS9_17counting_iteratorImNS9_11use_defaultESD_SD_EESD_SD_EENS9_6detail15normal_iteratorINS9_10device_ptrIiEEEESK_iNS9_4plusIvEENS9_8equal_toIvEEiEE10hipError_tPvRmT2_T3_T4_T5_mT6_T7_P12ihipStream_tbENKUlT_T0_E_clISt17integral_constantIbLb0EES15_EEDaS10_S11_EUlS10_E_NS1_11comp_targetILNS1_3genE10ELNS1_11target_archE1201ELNS1_3gpuE5ELNS1_3repE0EEENS1_30default_config_static_selectorELNS0_4arch9wavefront6targetE0EEEvT1_
    .private_segment_fixed_size: 0
    .sgpr_count:     0
    .sgpr_spill_count: 0
    .symbol:         _ZN7rocprim17ROCPRIM_400000_NS6detail17trampoline_kernelINS0_14default_configENS1_27scan_by_key_config_selectorImiEEZZNS1_16scan_by_key_implILNS1_25lookback_scan_determinismE0ELb0ES3_N6thrust23THRUST_200600_302600_NS18transform_iteratorI9row_indexNS9_17counting_iteratorImNS9_11use_defaultESD_SD_EESD_SD_EENS9_6detail15normal_iteratorINS9_10device_ptrIiEEEESK_iNS9_4plusIvEENS9_8equal_toIvEEiEE10hipError_tPvRmT2_T3_T4_T5_mT6_T7_P12ihipStream_tbENKUlT_T0_E_clISt17integral_constantIbLb0EES15_EEDaS10_S11_EUlS10_E_NS1_11comp_targetILNS1_3genE10ELNS1_11target_archE1201ELNS1_3gpuE5ELNS1_3repE0EEENS1_30default_config_static_selectorELNS0_4arch9wavefront6targetE0EEEvT1_.kd
    .uniform_work_group_size: 1
    .uses_dynamic_stack: false
    .vgpr_count:     0
    .vgpr_spill_count: 0
    .wavefront_size: 32
    .workgroup_processor_mode: 1
  - .args:
      - .offset:         0
        .size:           120
        .value_kind:     by_value
    .group_segment_fixed_size: 0
    .kernarg_segment_align: 8
    .kernarg_segment_size: 120
    .language:       OpenCL C
    .language_version:
      - 2
      - 0
    .max_flat_workgroup_size: 256
    .name:           _ZN7rocprim17ROCPRIM_400000_NS6detail17trampoline_kernelINS0_14default_configENS1_27scan_by_key_config_selectorImiEEZZNS1_16scan_by_key_implILNS1_25lookback_scan_determinismE0ELb0ES3_N6thrust23THRUST_200600_302600_NS18transform_iteratorI9row_indexNS9_17counting_iteratorImNS9_11use_defaultESD_SD_EESD_SD_EENS9_6detail15normal_iteratorINS9_10device_ptrIiEEEESK_iNS9_4plusIvEENS9_8equal_toIvEEiEE10hipError_tPvRmT2_T3_T4_T5_mT6_T7_P12ihipStream_tbENKUlT_T0_E_clISt17integral_constantIbLb0EES15_EEDaS10_S11_EUlS10_E_NS1_11comp_targetILNS1_3genE5ELNS1_11target_archE942ELNS1_3gpuE9ELNS1_3repE0EEENS1_30default_config_static_selectorELNS0_4arch9wavefront6targetE0EEEvT1_
    .private_segment_fixed_size: 0
    .sgpr_count:     0
    .sgpr_spill_count: 0
    .symbol:         _ZN7rocprim17ROCPRIM_400000_NS6detail17trampoline_kernelINS0_14default_configENS1_27scan_by_key_config_selectorImiEEZZNS1_16scan_by_key_implILNS1_25lookback_scan_determinismE0ELb0ES3_N6thrust23THRUST_200600_302600_NS18transform_iteratorI9row_indexNS9_17counting_iteratorImNS9_11use_defaultESD_SD_EESD_SD_EENS9_6detail15normal_iteratorINS9_10device_ptrIiEEEESK_iNS9_4plusIvEENS9_8equal_toIvEEiEE10hipError_tPvRmT2_T3_T4_T5_mT6_T7_P12ihipStream_tbENKUlT_T0_E_clISt17integral_constantIbLb0EES15_EEDaS10_S11_EUlS10_E_NS1_11comp_targetILNS1_3genE5ELNS1_11target_archE942ELNS1_3gpuE9ELNS1_3repE0EEENS1_30default_config_static_selectorELNS0_4arch9wavefront6targetE0EEEvT1_.kd
    .uniform_work_group_size: 1
    .uses_dynamic_stack: false
    .vgpr_count:     0
    .vgpr_spill_count: 0
    .wavefront_size: 32
    .workgroup_processor_mode: 1
  - .args:
      - .offset:         0
        .size:           120
        .value_kind:     by_value
    .group_segment_fixed_size: 0
    .kernarg_segment_align: 8
    .kernarg_segment_size: 120
    .language:       OpenCL C
    .language_version:
      - 2
      - 0
    .max_flat_workgroup_size: 256
    .name:           _ZN7rocprim17ROCPRIM_400000_NS6detail17trampoline_kernelINS0_14default_configENS1_27scan_by_key_config_selectorImiEEZZNS1_16scan_by_key_implILNS1_25lookback_scan_determinismE0ELb0ES3_N6thrust23THRUST_200600_302600_NS18transform_iteratorI9row_indexNS9_17counting_iteratorImNS9_11use_defaultESD_SD_EESD_SD_EENS9_6detail15normal_iteratorINS9_10device_ptrIiEEEESK_iNS9_4plusIvEENS9_8equal_toIvEEiEE10hipError_tPvRmT2_T3_T4_T5_mT6_T7_P12ihipStream_tbENKUlT_T0_E_clISt17integral_constantIbLb0EES15_EEDaS10_S11_EUlS10_E_NS1_11comp_targetILNS1_3genE4ELNS1_11target_archE910ELNS1_3gpuE8ELNS1_3repE0EEENS1_30default_config_static_selectorELNS0_4arch9wavefront6targetE0EEEvT1_
    .private_segment_fixed_size: 0
    .sgpr_count:     0
    .sgpr_spill_count: 0
    .symbol:         _ZN7rocprim17ROCPRIM_400000_NS6detail17trampoline_kernelINS0_14default_configENS1_27scan_by_key_config_selectorImiEEZZNS1_16scan_by_key_implILNS1_25lookback_scan_determinismE0ELb0ES3_N6thrust23THRUST_200600_302600_NS18transform_iteratorI9row_indexNS9_17counting_iteratorImNS9_11use_defaultESD_SD_EESD_SD_EENS9_6detail15normal_iteratorINS9_10device_ptrIiEEEESK_iNS9_4plusIvEENS9_8equal_toIvEEiEE10hipError_tPvRmT2_T3_T4_T5_mT6_T7_P12ihipStream_tbENKUlT_T0_E_clISt17integral_constantIbLb0EES15_EEDaS10_S11_EUlS10_E_NS1_11comp_targetILNS1_3genE4ELNS1_11target_archE910ELNS1_3gpuE8ELNS1_3repE0EEENS1_30default_config_static_selectorELNS0_4arch9wavefront6targetE0EEEvT1_.kd
    .uniform_work_group_size: 1
    .uses_dynamic_stack: false
    .vgpr_count:     0
    .vgpr_spill_count: 0
    .wavefront_size: 32
    .workgroup_processor_mode: 1
  - .args:
      - .offset:         0
        .size:           120
        .value_kind:     by_value
    .group_segment_fixed_size: 0
    .kernarg_segment_align: 8
    .kernarg_segment_size: 120
    .language:       OpenCL C
    .language_version:
      - 2
      - 0
    .max_flat_workgroup_size: 256
    .name:           _ZN7rocprim17ROCPRIM_400000_NS6detail17trampoline_kernelINS0_14default_configENS1_27scan_by_key_config_selectorImiEEZZNS1_16scan_by_key_implILNS1_25lookback_scan_determinismE0ELb0ES3_N6thrust23THRUST_200600_302600_NS18transform_iteratorI9row_indexNS9_17counting_iteratorImNS9_11use_defaultESD_SD_EESD_SD_EENS9_6detail15normal_iteratorINS9_10device_ptrIiEEEESK_iNS9_4plusIvEENS9_8equal_toIvEEiEE10hipError_tPvRmT2_T3_T4_T5_mT6_T7_P12ihipStream_tbENKUlT_T0_E_clISt17integral_constantIbLb0EES15_EEDaS10_S11_EUlS10_E_NS1_11comp_targetILNS1_3genE3ELNS1_11target_archE908ELNS1_3gpuE7ELNS1_3repE0EEENS1_30default_config_static_selectorELNS0_4arch9wavefront6targetE0EEEvT1_
    .private_segment_fixed_size: 0
    .sgpr_count:     0
    .sgpr_spill_count: 0
    .symbol:         _ZN7rocprim17ROCPRIM_400000_NS6detail17trampoline_kernelINS0_14default_configENS1_27scan_by_key_config_selectorImiEEZZNS1_16scan_by_key_implILNS1_25lookback_scan_determinismE0ELb0ES3_N6thrust23THRUST_200600_302600_NS18transform_iteratorI9row_indexNS9_17counting_iteratorImNS9_11use_defaultESD_SD_EESD_SD_EENS9_6detail15normal_iteratorINS9_10device_ptrIiEEEESK_iNS9_4plusIvEENS9_8equal_toIvEEiEE10hipError_tPvRmT2_T3_T4_T5_mT6_T7_P12ihipStream_tbENKUlT_T0_E_clISt17integral_constantIbLb0EES15_EEDaS10_S11_EUlS10_E_NS1_11comp_targetILNS1_3genE3ELNS1_11target_archE908ELNS1_3gpuE7ELNS1_3repE0EEENS1_30default_config_static_selectorELNS0_4arch9wavefront6targetE0EEEvT1_.kd
    .uniform_work_group_size: 1
    .uses_dynamic_stack: false
    .vgpr_count:     0
    .vgpr_spill_count: 0
    .wavefront_size: 32
    .workgroup_processor_mode: 1
  - .args:
      - .offset:         0
        .size:           120
        .value_kind:     by_value
    .group_segment_fixed_size: 0
    .kernarg_segment_align: 8
    .kernarg_segment_size: 120
    .language:       OpenCL C
    .language_version:
      - 2
      - 0
    .max_flat_workgroup_size: 256
    .name:           _ZN7rocprim17ROCPRIM_400000_NS6detail17trampoline_kernelINS0_14default_configENS1_27scan_by_key_config_selectorImiEEZZNS1_16scan_by_key_implILNS1_25lookback_scan_determinismE0ELb0ES3_N6thrust23THRUST_200600_302600_NS18transform_iteratorI9row_indexNS9_17counting_iteratorImNS9_11use_defaultESD_SD_EESD_SD_EENS9_6detail15normal_iteratorINS9_10device_ptrIiEEEESK_iNS9_4plusIvEENS9_8equal_toIvEEiEE10hipError_tPvRmT2_T3_T4_T5_mT6_T7_P12ihipStream_tbENKUlT_T0_E_clISt17integral_constantIbLb0EES15_EEDaS10_S11_EUlS10_E_NS1_11comp_targetILNS1_3genE2ELNS1_11target_archE906ELNS1_3gpuE6ELNS1_3repE0EEENS1_30default_config_static_selectorELNS0_4arch9wavefront6targetE0EEEvT1_
    .private_segment_fixed_size: 0
    .sgpr_count:     0
    .sgpr_spill_count: 0
    .symbol:         _ZN7rocprim17ROCPRIM_400000_NS6detail17trampoline_kernelINS0_14default_configENS1_27scan_by_key_config_selectorImiEEZZNS1_16scan_by_key_implILNS1_25lookback_scan_determinismE0ELb0ES3_N6thrust23THRUST_200600_302600_NS18transform_iteratorI9row_indexNS9_17counting_iteratorImNS9_11use_defaultESD_SD_EESD_SD_EENS9_6detail15normal_iteratorINS9_10device_ptrIiEEEESK_iNS9_4plusIvEENS9_8equal_toIvEEiEE10hipError_tPvRmT2_T3_T4_T5_mT6_T7_P12ihipStream_tbENKUlT_T0_E_clISt17integral_constantIbLb0EES15_EEDaS10_S11_EUlS10_E_NS1_11comp_targetILNS1_3genE2ELNS1_11target_archE906ELNS1_3gpuE6ELNS1_3repE0EEENS1_30default_config_static_selectorELNS0_4arch9wavefront6targetE0EEEvT1_.kd
    .uniform_work_group_size: 1
    .uses_dynamic_stack: false
    .vgpr_count:     0
    .vgpr_spill_count: 0
    .wavefront_size: 32
    .workgroup_processor_mode: 1
  - .args:
      - .offset:         0
        .size:           120
        .value_kind:     by_value
    .group_segment_fixed_size: 0
    .kernarg_segment_align: 8
    .kernarg_segment_size: 120
    .language:       OpenCL C
    .language_version:
      - 2
      - 0
    .max_flat_workgroup_size: 256
    .name:           _ZN7rocprim17ROCPRIM_400000_NS6detail17trampoline_kernelINS0_14default_configENS1_27scan_by_key_config_selectorImiEEZZNS1_16scan_by_key_implILNS1_25lookback_scan_determinismE0ELb0ES3_N6thrust23THRUST_200600_302600_NS18transform_iteratorI9row_indexNS9_17counting_iteratorImNS9_11use_defaultESD_SD_EESD_SD_EENS9_6detail15normal_iteratorINS9_10device_ptrIiEEEESK_iNS9_4plusIvEENS9_8equal_toIvEEiEE10hipError_tPvRmT2_T3_T4_T5_mT6_T7_P12ihipStream_tbENKUlT_T0_E_clISt17integral_constantIbLb0EES15_EEDaS10_S11_EUlS10_E_NS1_11comp_targetILNS1_3genE10ELNS1_11target_archE1200ELNS1_3gpuE4ELNS1_3repE0EEENS1_30default_config_static_selectorELNS0_4arch9wavefront6targetE0EEEvT1_
    .private_segment_fixed_size: 0
    .sgpr_count:     0
    .sgpr_spill_count: 0
    .symbol:         _ZN7rocprim17ROCPRIM_400000_NS6detail17trampoline_kernelINS0_14default_configENS1_27scan_by_key_config_selectorImiEEZZNS1_16scan_by_key_implILNS1_25lookback_scan_determinismE0ELb0ES3_N6thrust23THRUST_200600_302600_NS18transform_iteratorI9row_indexNS9_17counting_iteratorImNS9_11use_defaultESD_SD_EESD_SD_EENS9_6detail15normal_iteratorINS9_10device_ptrIiEEEESK_iNS9_4plusIvEENS9_8equal_toIvEEiEE10hipError_tPvRmT2_T3_T4_T5_mT6_T7_P12ihipStream_tbENKUlT_T0_E_clISt17integral_constantIbLb0EES15_EEDaS10_S11_EUlS10_E_NS1_11comp_targetILNS1_3genE10ELNS1_11target_archE1200ELNS1_3gpuE4ELNS1_3repE0EEENS1_30default_config_static_selectorELNS0_4arch9wavefront6targetE0EEEvT1_.kd
    .uniform_work_group_size: 1
    .uses_dynamic_stack: false
    .vgpr_count:     0
    .vgpr_spill_count: 0
    .wavefront_size: 32
    .workgroup_processor_mode: 1
  - .args:
      - .offset:         0
        .size:           120
        .value_kind:     by_value
    .group_segment_fixed_size: 37888
    .kernarg_segment_align: 8
    .kernarg_segment_size: 120
    .language:       OpenCL C
    .language_version:
      - 2
      - 0
    .max_flat_workgroup_size: 256
    .name:           _ZN7rocprim17ROCPRIM_400000_NS6detail17trampoline_kernelINS0_14default_configENS1_27scan_by_key_config_selectorImiEEZZNS1_16scan_by_key_implILNS1_25lookback_scan_determinismE0ELb0ES3_N6thrust23THRUST_200600_302600_NS18transform_iteratorI9row_indexNS9_17counting_iteratorImNS9_11use_defaultESD_SD_EESD_SD_EENS9_6detail15normal_iteratorINS9_10device_ptrIiEEEESK_iNS9_4plusIvEENS9_8equal_toIvEEiEE10hipError_tPvRmT2_T3_T4_T5_mT6_T7_P12ihipStream_tbENKUlT_T0_E_clISt17integral_constantIbLb0EES15_EEDaS10_S11_EUlS10_E_NS1_11comp_targetILNS1_3genE9ELNS1_11target_archE1100ELNS1_3gpuE3ELNS1_3repE0EEENS1_30default_config_static_selectorELNS0_4arch9wavefront6targetE0EEEvT1_
    .private_segment_fixed_size: 0
    .sgpr_count:     60
    .sgpr_spill_count: 0
    .symbol:         _ZN7rocprim17ROCPRIM_400000_NS6detail17trampoline_kernelINS0_14default_configENS1_27scan_by_key_config_selectorImiEEZZNS1_16scan_by_key_implILNS1_25lookback_scan_determinismE0ELb0ES3_N6thrust23THRUST_200600_302600_NS18transform_iteratorI9row_indexNS9_17counting_iteratorImNS9_11use_defaultESD_SD_EESD_SD_EENS9_6detail15normal_iteratorINS9_10device_ptrIiEEEESK_iNS9_4plusIvEENS9_8equal_toIvEEiEE10hipError_tPvRmT2_T3_T4_T5_mT6_T7_P12ihipStream_tbENKUlT_T0_E_clISt17integral_constantIbLb0EES15_EEDaS10_S11_EUlS10_E_NS1_11comp_targetILNS1_3genE9ELNS1_11target_archE1100ELNS1_3gpuE3ELNS1_3repE0EEENS1_30default_config_static_selectorELNS0_4arch9wavefront6targetE0EEEvT1_.kd
    .uniform_work_group_size: 1
    .uses_dynamic_stack: false
    .vgpr_count:     75
    .vgpr_spill_count: 0
    .wavefront_size: 32
    .workgroup_processor_mode: 1
  - .args:
      - .offset:         0
        .size:           120
        .value_kind:     by_value
    .group_segment_fixed_size: 0
    .kernarg_segment_align: 8
    .kernarg_segment_size: 120
    .language:       OpenCL C
    .language_version:
      - 2
      - 0
    .max_flat_workgroup_size: 256
    .name:           _ZN7rocprim17ROCPRIM_400000_NS6detail17trampoline_kernelINS0_14default_configENS1_27scan_by_key_config_selectorImiEEZZNS1_16scan_by_key_implILNS1_25lookback_scan_determinismE0ELb0ES3_N6thrust23THRUST_200600_302600_NS18transform_iteratorI9row_indexNS9_17counting_iteratorImNS9_11use_defaultESD_SD_EESD_SD_EENS9_6detail15normal_iteratorINS9_10device_ptrIiEEEESK_iNS9_4plusIvEENS9_8equal_toIvEEiEE10hipError_tPvRmT2_T3_T4_T5_mT6_T7_P12ihipStream_tbENKUlT_T0_E_clISt17integral_constantIbLb0EES15_EEDaS10_S11_EUlS10_E_NS1_11comp_targetILNS1_3genE8ELNS1_11target_archE1030ELNS1_3gpuE2ELNS1_3repE0EEENS1_30default_config_static_selectorELNS0_4arch9wavefront6targetE0EEEvT1_
    .private_segment_fixed_size: 0
    .sgpr_count:     0
    .sgpr_spill_count: 0
    .symbol:         _ZN7rocprim17ROCPRIM_400000_NS6detail17trampoline_kernelINS0_14default_configENS1_27scan_by_key_config_selectorImiEEZZNS1_16scan_by_key_implILNS1_25lookback_scan_determinismE0ELb0ES3_N6thrust23THRUST_200600_302600_NS18transform_iteratorI9row_indexNS9_17counting_iteratorImNS9_11use_defaultESD_SD_EESD_SD_EENS9_6detail15normal_iteratorINS9_10device_ptrIiEEEESK_iNS9_4plusIvEENS9_8equal_toIvEEiEE10hipError_tPvRmT2_T3_T4_T5_mT6_T7_P12ihipStream_tbENKUlT_T0_E_clISt17integral_constantIbLb0EES15_EEDaS10_S11_EUlS10_E_NS1_11comp_targetILNS1_3genE8ELNS1_11target_archE1030ELNS1_3gpuE2ELNS1_3repE0EEENS1_30default_config_static_selectorELNS0_4arch9wavefront6targetE0EEEvT1_.kd
    .uniform_work_group_size: 1
    .uses_dynamic_stack: false
    .vgpr_count:     0
    .vgpr_spill_count: 0
    .wavefront_size: 32
    .workgroup_processor_mode: 1
  - .args:
      - .address_space:  global
        .offset:         0
        .size:           8
        .value_kind:     global_buffer
      - .offset:         8
        .size:           4
        .value_kind:     by_value
      - .offset:         12
        .size:           4
        .value_kind:     by_value
      - .address_space:  global
        .offset:         16
        .size:           8
        .value_kind:     global_buffer
      - .offset:         24
        .size:           16
        .value_kind:     by_value
      - .actual_access:  write_only
        .address_space:  global
        .offset:         40
        .size:           8
        .value_kind:     global_buffer
      - .offset:         48
        .size:           8
        .value_kind:     by_value
      - .offset:         56
        .size:           4
        .value_kind:     by_value
      - .address_space:  global
        .offset:         64
        .size:           8
        .value_kind:     global_buffer
      - .offset:         72
        .size:           4
        .value_kind:     hidden_block_count_x
      - .offset:         76
        .size:           4
        .value_kind:     hidden_block_count_y
      - .offset:         80
        .size:           4
        .value_kind:     hidden_block_count_z
      - .offset:         84
        .size:           2
        .value_kind:     hidden_group_size_x
      - .offset:         86
        .size:           2
        .value_kind:     hidden_group_size_y
      - .offset:         88
        .size:           2
        .value_kind:     hidden_group_size_z
      - .offset:         90
        .size:           2
        .value_kind:     hidden_remainder_x
      - .offset:         92
        .size:           2
        .value_kind:     hidden_remainder_y
      - .offset:         94
        .size:           2
        .value_kind:     hidden_remainder_z
      - .offset:         112
        .size:           8
        .value_kind:     hidden_global_offset_x
      - .offset:         120
        .size:           8
        .value_kind:     hidden_global_offset_y
      - .offset:         128
        .size:           8
        .value_kind:     hidden_global_offset_z
      - .offset:         136
        .size:           2
        .value_kind:     hidden_grid_dims
    .group_segment_fixed_size: 0
    .kernarg_segment_align: 8
    .kernarg_segment_size: 328
    .language:       OpenCL C
    .language_version:
      - 2
      - 0
    .max_flat_workgroup_size: 256
    .name:           _ZN7rocprim17ROCPRIM_400000_NS6detail30init_device_scan_by_key_kernelINS1_19lookback_scan_stateINS0_5tupleIJibEEELb1ELb1EEEN6thrust23THRUST_200600_302600_NS18transform_iteratorI9row_indexNS8_17counting_iteratorImNS8_11use_defaultESC_SC_EESC_SC_EEjNS1_16block_id_wrapperIjLb1EEEEEvT_jjPNSH_10value_typeET0_PNSt15iterator_traitsISK_E10value_typeEmT1_T2_
    .private_segment_fixed_size: 0
    .sgpr_count:     18
    .sgpr_spill_count: 0
    .symbol:         _ZN7rocprim17ROCPRIM_400000_NS6detail30init_device_scan_by_key_kernelINS1_19lookback_scan_stateINS0_5tupleIJibEEELb1ELb1EEEN6thrust23THRUST_200600_302600_NS18transform_iteratorI9row_indexNS8_17counting_iteratorImNS8_11use_defaultESC_SC_EESC_SC_EEjNS1_16block_id_wrapperIjLb1EEEEEvT_jjPNSH_10value_typeET0_PNSt15iterator_traitsISK_E10value_typeEmT1_T2_.kd
    .uniform_work_group_size: 1
    .uses_dynamic_stack: false
    .vgpr_count:     20
    .vgpr_spill_count: 0
    .wavefront_size: 32
    .workgroup_processor_mode: 1
  - .args:
      - .address_space:  global
        .offset:         0
        .size:           8
        .value_kind:     global_buffer
      - .offset:         8
        .size:           4
        .value_kind:     by_value
      - .offset:         12
        .size:           4
        .value_kind:     by_value
      - .address_space:  global
        .offset:         16
        .size:           8
        .value_kind:     global_buffer
      - .address_space:  global
        .offset:         24
        .size:           8
        .value_kind:     global_buffer
      - .offset:         32
        .size:           4
        .value_kind:     hidden_block_count_x
      - .offset:         36
        .size:           4
        .value_kind:     hidden_block_count_y
      - .offset:         40
        .size:           4
        .value_kind:     hidden_block_count_z
      - .offset:         44
        .size:           2
        .value_kind:     hidden_group_size_x
      - .offset:         46
        .size:           2
        .value_kind:     hidden_group_size_y
      - .offset:         48
        .size:           2
        .value_kind:     hidden_group_size_z
      - .offset:         50
        .size:           2
        .value_kind:     hidden_remainder_x
      - .offset:         52
        .size:           2
        .value_kind:     hidden_remainder_y
      - .offset:         54
        .size:           2
        .value_kind:     hidden_remainder_z
      - .offset:         72
        .size:           8
        .value_kind:     hidden_global_offset_x
      - .offset:         80
        .size:           8
        .value_kind:     hidden_global_offset_y
      - .offset:         88
        .size:           8
        .value_kind:     hidden_global_offset_z
      - .offset:         96
        .size:           2
        .value_kind:     hidden_grid_dims
    .group_segment_fixed_size: 0
    .kernarg_segment_align: 8
    .kernarg_segment_size: 288
    .language:       OpenCL C
    .language_version:
      - 2
      - 0
    .max_flat_workgroup_size: 256
    .name:           _ZN7rocprim17ROCPRIM_400000_NS6detail30init_device_scan_by_key_kernelINS1_19lookback_scan_stateINS0_5tupleIJibEEELb1ELb1EEENS1_16block_id_wrapperIjLb1EEEEEvT_jjPNS9_10value_typeET0_
    .private_segment_fixed_size: 0
    .sgpr_count:     18
    .sgpr_spill_count: 0
    .symbol:         _ZN7rocprim17ROCPRIM_400000_NS6detail30init_device_scan_by_key_kernelINS1_19lookback_scan_stateINS0_5tupleIJibEEELb1ELb1EEENS1_16block_id_wrapperIjLb1EEEEEvT_jjPNS9_10value_typeET0_.kd
    .uniform_work_group_size: 1
    .uses_dynamic_stack: false
    .vgpr_count:     9
    .vgpr_spill_count: 0
    .wavefront_size: 32
    .workgroup_processor_mode: 1
  - .args:
      - .offset:         0
        .size:           120
        .value_kind:     by_value
    .group_segment_fixed_size: 0
    .kernarg_segment_align: 8
    .kernarg_segment_size: 120
    .language:       OpenCL C
    .language_version:
      - 2
      - 0
    .max_flat_workgroup_size: 256
    .name:           _ZN7rocprim17ROCPRIM_400000_NS6detail17trampoline_kernelINS0_14default_configENS1_27scan_by_key_config_selectorImiEEZZNS1_16scan_by_key_implILNS1_25lookback_scan_determinismE0ELb0ES3_N6thrust23THRUST_200600_302600_NS18transform_iteratorI9row_indexNS9_17counting_iteratorImNS9_11use_defaultESD_SD_EESD_SD_EENS9_6detail15normal_iteratorINS9_10device_ptrIiEEEESK_iNS9_4plusIvEENS9_8equal_toIvEEiEE10hipError_tPvRmT2_T3_T4_T5_mT6_T7_P12ihipStream_tbENKUlT_T0_E_clISt17integral_constantIbLb1EES15_EEDaS10_S11_EUlS10_E_NS1_11comp_targetILNS1_3genE0ELNS1_11target_archE4294967295ELNS1_3gpuE0ELNS1_3repE0EEENS1_30default_config_static_selectorELNS0_4arch9wavefront6targetE0EEEvT1_
    .private_segment_fixed_size: 0
    .sgpr_count:     0
    .sgpr_spill_count: 0
    .symbol:         _ZN7rocprim17ROCPRIM_400000_NS6detail17trampoline_kernelINS0_14default_configENS1_27scan_by_key_config_selectorImiEEZZNS1_16scan_by_key_implILNS1_25lookback_scan_determinismE0ELb0ES3_N6thrust23THRUST_200600_302600_NS18transform_iteratorI9row_indexNS9_17counting_iteratorImNS9_11use_defaultESD_SD_EESD_SD_EENS9_6detail15normal_iteratorINS9_10device_ptrIiEEEESK_iNS9_4plusIvEENS9_8equal_toIvEEiEE10hipError_tPvRmT2_T3_T4_T5_mT6_T7_P12ihipStream_tbENKUlT_T0_E_clISt17integral_constantIbLb1EES15_EEDaS10_S11_EUlS10_E_NS1_11comp_targetILNS1_3genE0ELNS1_11target_archE4294967295ELNS1_3gpuE0ELNS1_3repE0EEENS1_30default_config_static_selectorELNS0_4arch9wavefront6targetE0EEEvT1_.kd
    .uniform_work_group_size: 1
    .uses_dynamic_stack: false
    .vgpr_count:     0
    .vgpr_spill_count: 0
    .wavefront_size: 32
    .workgroup_processor_mode: 1
  - .args:
      - .offset:         0
        .size:           120
        .value_kind:     by_value
    .group_segment_fixed_size: 0
    .kernarg_segment_align: 8
    .kernarg_segment_size: 120
    .language:       OpenCL C
    .language_version:
      - 2
      - 0
    .max_flat_workgroup_size: 256
    .name:           _ZN7rocprim17ROCPRIM_400000_NS6detail17trampoline_kernelINS0_14default_configENS1_27scan_by_key_config_selectorImiEEZZNS1_16scan_by_key_implILNS1_25lookback_scan_determinismE0ELb0ES3_N6thrust23THRUST_200600_302600_NS18transform_iteratorI9row_indexNS9_17counting_iteratorImNS9_11use_defaultESD_SD_EESD_SD_EENS9_6detail15normal_iteratorINS9_10device_ptrIiEEEESK_iNS9_4plusIvEENS9_8equal_toIvEEiEE10hipError_tPvRmT2_T3_T4_T5_mT6_T7_P12ihipStream_tbENKUlT_T0_E_clISt17integral_constantIbLb1EES15_EEDaS10_S11_EUlS10_E_NS1_11comp_targetILNS1_3genE10ELNS1_11target_archE1201ELNS1_3gpuE5ELNS1_3repE0EEENS1_30default_config_static_selectorELNS0_4arch9wavefront6targetE0EEEvT1_
    .private_segment_fixed_size: 0
    .sgpr_count:     0
    .sgpr_spill_count: 0
    .symbol:         _ZN7rocprim17ROCPRIM_400000_NS6detail17trampoline_kernelINS0_14default_configENS1_27scan_by_key_config_selectorImiEEZZNS1_16scan_by_key_implILNS1_25lookback_scan_determinismE0ELb0ES3_N6thrust23THRUST_200600_302600_NS18transform_iteratorI9row_indexNS9_17counting_iteratorImNS9_11use_defaultESD_SD_EESD_SD_EENS9_6detail15normal_iteratorINS9_10device_ptrIiEEEESK_iNS9_4plusIvEENS9_8equal_toIvEEiEE10hipError_tPvRmT2_T3_T4_T5_mT6_T7_P12ihipStream_tbENKUlT_T0_E_clISt17integral_constantIbLb1EES15_EEDaS10_S11_EUlS10_E_NS1_11comp_targetILNS1_3genE10ELNS1_11target_archE1201ELNS1_3gpuE5ELNS1_3repE0EEENS1_30default_config_static_selectorELNS0_4arch9wavefront6targetE0EEEvT1_.kd
    .uniform_work_group_size: 1
    .uses_dynamic_stack: false
    .vgpr_count:     0
    .vgpr_spill_count: 0
    .wavefront_size: 32
    .workgroup_processor_mode: 1
  - .args:
      - .offset:         0
        .size:           120
        .value_kind:     by_value
    .group_segment_fixed_size: 0
    .kernarg_segment_align: 8
    .kernarg_segment_size: 120
    .language:       OpenCL C
    .language_version:
      - 2
      - 0
    .max_flat_workgroup_size: 256
    .name:           _ZN7rocprim17ROCPRIM_400000_NS6detail17trampoline_kernelINS0_14default_configENS1_27scan_by_key_config_selectorImiEEZZNS1_16scan_by_key_implILNS1_25lookback_scan_determinismE0ELb0ES3_N6thrust23THRUST_200600_302600_NS18transform_iteratorI9row_indexNS9_17counting_iteratorImNS9_11use_defaultESD_SD_EESD_SD_EENS9_6detail15normal_iteratorINS9_10device_ptrIiEEEESK_iNS9_4plusIvEENS9_8equal_toIvEEiEE10hipError_tPvRmT2_T3_T4_T5_mT6_T7_P12ihipStream_tbENKUlT_T0_E_clISt17integral_constantIbLb1EES15_EEDaS10_S11_EUlS10_E_NS1_11comp_targetILNS1_3genE5ELNS1_11target_archE942ELNS1_3gpuE9ELNS1_3repE0EEENS1_30default_config_static_selectorELNS0_4arch9wavefront6targetE0EEEvT1_
    .private_segment_fixed_size: 0
    .sgpr_count:     0
    .sgpr_spill_count: 0
    .symbol:         _ZN7rocprim17ROCPRIM_400000_NS6detail17trampoline_kernelINS0_14default_configENS1_27scan_by_key_config_selectorImiEEZZNS1_16scan_by_key_implILNS1_25lookback_scan_determinismE0ELb0ES3_N6thrust23THRUST_200600_302600_NS18transform_iteratorI9row_indexNS9_17counting_iteratorImNS9_11use_defaultESD_SD_EESD_SD_EENS9_6detail15normal_iteratorINS9_10device_ptrIiEEEESK_iNS9_4plusIvEENS9_8equal_toIvEEiEE10hipError_tPvRmT2_T3_T4_T5_mT6_T7_P12ihipStream_tbENKUlT_T0_E_clISt17integral_constantIbLb1EES15_EEDaS10_S11_EUlS10_E_NS1_11comp_targetILNS1_3genE5ELNS1_11target_archE942ELNS1_3gpuE9ELNS1_3repE0EEENS1_30default_config_static_selectorELNS0_4arch9wavefront6targetE0EEEvT1_.kd
    .uniform_work_group_size: 1
    .uses_dynamic_stack: false
    .vgpr_count:     0
    .vgpr_spill_count: 0
    .wavefront_size: 32
    .workgroup_processor_mode: 1
  - .args:
      - .offset:         0
        .size:           120
        .value_kind:     by_value
    .group_segment_fixed_size: 0
    .kernarg_segment_align: 8
    .kernarg_segment_size: 120
    .language:       OpenCL C
    .language_version:
      - 2
      - 0
    .max_flat_workgroup_size: 256
    .name:           _ZN7rocprim17ROCPRIM_400000_NS6detail17trampoline_kernelINS0_14default_configENS1_27scan_by_key_config_selectorImiEEZZNS1_16scan_by_key_implILNS1_25lookback_scan_determinismE0ELb0ES3_N6thrust23THRUST_200600_302600_NS18transform_iteratorI9row_indexNS9_17counting_iteratorImNS9_11use_defaultESD_SD_EESD_SD_EENS9_6detail15normal_iteratorINS9_10device_ptrIiEEEESK_iNS9_4plusIvEENS9_8equal_toIvEEiEE10hipError_tPvRmT2_T3_T4_T5_mT6_T7_P12ihipStream_tbENKUlT_T0_E_clISt17integral_constantIbLb1EES15_EEDaS10_S11_EUlS10_E_NS1_11comp_targetILNS1_3genE4ELNS1_11target_archE910ELNS1_3gpuE8ELNS1_3repE0EEENS1_30default_config_static_selectorELNS0_4arch9wavefront6targetE0EEEvT1_
    .private_segment_fixed_size: 0
    .sgpr_count:     0
    .sgpr_spill_count: 0
    .symbol:         _ZN7rocprim17ROCPRIM_400000_NS6detail17trampoline_kernelINS0_14default_configENS1_27scan_by_key_config_selectorImiEEZZNS1_16scan_by_key_implILNS1_25lookback_scan_determinismE0ELb0ES3_N6thrust23THRUST_200600_302600_NS18transform_iteratorI9row_indexNS9_17counting_iteratorImNS9_11use_defaultESD_SD_EESD_SD_EENS9_6detail15normal_iteratorINS9_10device_ptrIiEEEESK_iNS9_4plusIvEENS9_8equal_toIvEEiEE10hipError_tPvRmT2_T3_T4_T5_mT6_T7_P12ihipStream_tbENKUlT_T0_E_clISt17integral_constantIbLb1EES15_EEDaS10_S11_EUlS10_E_NS1_11comp_targetILNS1_3genE4ELNS1_11target_archE910ELNS1_3gpuE8ELNS1_3repE0EEENS1_30default_config_static_selectorELNS0_4arch9wavefront6targetE0EEEvT1_.kd
    .uniform_work_group_size: 1
    .uses_dynamic_stack: false
    .vgpr_count:     0
    .vgpr_spill_count: 0
    .wavefront_size: 32
    .workgroup_processor_mode: 1
  - .args:
      - .offset:         0
        .size:           120
        .value_kind:     by_value
    .group_segment_fixed_size: 0
    .kernarg_segment_align: 8
    .kernarg_segment_size: 120
    .language:       OpenCL C
    .language_version:
      - 2
      - 0
    .max_flat_workgroup_size: 256
    .name:           _ZN7rocprim17ROCPRIM_400000_NS6detail17trampoline_kernelINS0_14default_configENS1_27scan_by_key_config_selectorImiEEZZNS1_16scan_by_key_implILNS1_25lookback_scan_determinismE0ELb0ES3_N6thrust23THRUST_200600_302600_NS18transform_iteratorI9row_indexNS9_17counting_iteratorImNS9_11use_defaultESD_SD_EESD_SD_EENS9_6detail15normal_iteratorINS9_10device_ptrIiEEEESK_iNS9_4plusIvEENS9_8equal_toIvEEiEE10hipError_tPvRmT2_T3_T4_T5_mT6_T7_P12ihipStream_tbENKUlT_T0_E_clISt17integral_constantIbLb1EES15_EEDaS10_S11_EUlS10_E_NS1_11comp_targetILNS1_3genE3ELNS1_11target_archE908ELNS1_3gpuE7ELNS1_3repE0EEENS1_30default_config_static_selectorELNS0_4arch9wavefront6targetE0EEEvT1_
    .private_segment_fixed_size: 0
    .sgpr_count:     0
    .sgpr_spill_count: 0
    .symbol:         _ZN7rocprim17ROCPRIM_400000_NS6detail17trampoline_kernelINS0_14default_configENS1_27scan_by_key_config_selectorImiEEZZNS1_16scan_by_key_implILNS1_25lookback_scan_determinismE0ELb0ES3_N6thrust23THRUST_200600_302600_NS18transform_iteratorI9row_indexNS9_17counting_iteratorImNS9_11use_defaultESD_SD_EESD_SD_EENS9_6detail15normal_iteratorINS9_10device_ptrIiEEEESK_iNS9_4plusIvEENS9_8equal_toIvEEiEE10hipError_tPvRmT2_T3_T4_T5_mT6_T7_P12ihipStream_tbENKUlT_T0_E_clISt17integral_constantIbLb1EES15_EEDaS10_S11_EUlS10_E_NS1_11comp_targetILNS1_3genE3ELNS1_11target_archE908ELNS1_3gpuE7ELNS1_3repE0EEENS1_30default_config_static_selectorELNS0_4arch9wavefront6targetE0EEEvT1_.kd
    .uniform_work_group_size: 1
    .uses_dynamic_stack: false
    .vgpr_count:     0
    .vgpr_spill_count: 0
    .wavefront_size: 32
    .workgroup_processor_mode: 1
  - .args:
      - .offset:         0
        .size:           120
        .value_kind:     by_value
    .group_segment_fixed_size: 0
    .kernarg_segment_align: 8
    .kernarg_segment_size: 120
    .language:       OpenCL C
    .language_version:
      - 2
      - 0
    .max_flat_workgroup_size: 256
    .name:           _ZN7rocprim17ROCPRIM_400000_NS6detail17trampoline_kernelINS0_14default_configENS1_27scan_by_key_config_selectorImiEEZZNS1_16scan_by_key_implILNS1_25lookback_scan_determinismE0ELb0ES3_N6thrust23THRUST_200600_302600_NS18transform_iteratorI9row_indexNS9_17counting_iteratorImNS9_11use_defaultESD_SD_EESD_SD_EENS9_6detail15normal_iteratorINS9_10device_ptrIiEEEESK_iNS9_4plusIvEENS9_8equal_toIvEEiEE10hipError_tPvRmT2_T3_T4_T5_mT6_T7_P12ihipStream_tbENKUlT_T0_E_clISt17integral_constantIbLb1EES15_EEDaS10_S11_EUlS10_E_NS1_11comp_targetILNS1_3genE2ELNS1_11target_archE906ELNS1_3gpuE6ELNS1_3repE0EEENS1_30default_config_static_selectorELNS0_4arch9wavefront6targetE0EEEvT1_
    .private_segment_fixed_size: 0
    .sgpr_count:     0
    .sgpr_spill_count: 0
    .symbol:         _ZN7rocprim17ROCPRIM_400000_NS6detail17trampoline_kernelINS0_14default_configENS1_27scan_by_key_config_selectorImiEEZZNS1_16scan_by_key_implILNS1_25lookback_scan_determinismE0ELb0ES3_N6thrust23THRUST_200600_302600_NS18transform_iteratorI9row_indexNS9_17counting_iteratorImNS9_11use_defaultESD_SD_EESD_SD_EENS9_6detail15normal_iteratorINS9_10device_ptrIiEEEESK_iNS9_4plusIvEENS9_8equal_toIvEEiEE10hipError_tPvRmT2_T3_T4_T5_mT6_T7_P12ihipStream_tbENKUlT_T0_E_clISt17integral_constantIbLb1EES15_EEDaS10_S11_EUlS10_E_NS1_11comp_targetILNS1_3genE2ELNS1_11target_archE906ELNS1_3gpuE6ELNS1_3repE0EEENS1_30default_config_static_selectorELNS0_4arch9wavefront6targetE0EEEvT1_.kd
    .uniform_work_group_size: 1
    .uses_dynamic_stack: false
    .vgpr_count:     0
    .vgpr_spill_count: 0
    .wavefront_size: 32
    .workgroup_processor_mode: 1
  - .args:
      - .offset:         0
        .size:           120
        .value_kind:     by_value
    .group_segment_fixed_size: 0
    .kernarg_segment_align: 8
    .kernarg_segment_size: 120
    .language:       OpenCL C
    .language_version:
      - 2
      - 0
    .max_flat_workgroup_size: 256
    .name:           _ZN7rocprim17ROCPRIM_400000_NS6detail17trampoline_kernelINS0_14default_configENS1_27scan_by_key_config_selectorImiEEZZNS1_16scan_by_key_implILNS1_25lookback_scan_determinismE0ELb0ES3_N6thrust23THRUST_200600_302600_NS18transform_iteratorI9row_indexNS9_17counting_iteratorImNS9_11use_defaultESD_SD_EESD_SD_EENS9_6detail15normal_iteratorINS9_10device_ptrIiEEEESK_iNS9_4plusIvEENS9_8equal_toIvEEiEE10hipError_tPvRmT2_T3_T4_T5_mT6_T7_P12ihipStream_tbENKUlT_T0_E_clISt17integral_constantIbLb1EES15_EEDaS10_S11_EUlS10_E_NS1_11comp_targetILNS1_3genE10ELNS1_11target_archE1200ELNS1_3gpuE4ELNS1_3repE0EEENS1_30default_config_static_selectorELNS0_4arch9wavefront6targetE0EEEvT1_
    .private_segment_fixed_size: 0
    .sgpr_count:     0
    .sgpr_spill_count: 0
    .symbol:         _ZN7rocprim17ROCPRIM_400000_NS6detail17trampoline_kernelINS0_14default_configENS1_27scan_by_key_config_selectorImiEEZZNS1_16scan_by_key_implILNS1_25lookback_scan_determinismE0ELb0ES3_N6thrust23THRUST_200600_302600_NS18transform_iteratorI9row_indexNS9_17counting_iteratorImNS9_11use_defaultESD_SD_EESD_SD_EENS9_6detail15normal_iteratorINS9_10device_ptrIiEEEESK_iNS9_4plusIvEENS9_8equal_toIvEEiEE10hipError_tPvRmT2_T3_T4_T5_mT6_T7_P12ihipStream_tbENKUlT_T0_E_clISt17integral_constantIbLb1EES15_EEDaS10_S11_EUlS10_E_NS1_11comp_targetILNS1_3genE10ELNS1_11target_archE1200ELNS1_3gpuE4ELNS1_3repE0EEENS1_30default_config_static_selectorELNS0_4arch9wavefront6targetE0EEEvT1_.kd
    .uniform_work_group_size: 1
    .uses_dynamic_stack: false
    .vgpr_count:     0
    .vgpr_spill_count: 0
    .wavefront_size: 32
    .workgroup_processor_mode: 1
  - .args:
      - .offset:         0
        .size:           120
        .value_kind:     by_value
    .group_segment_fixed_size: 37888
    .kernarg_segment_align: 8
    .kernarg_segment_size: 120
    .language:       OpenCL C
    .language_version:
      - 2
      - 0
    .max_flat_workgroup_size: 256
    .name:           _ZN7rocprim17ROCPRIM_400000_NS6detail17trampoline_kernelINS0_14default_configENS1_27scan_by_key_config_selectorImiEEZZNS1_16scan_by_key_implILNS1_25lookback_scan_determinismE0ELb0ES3_N6thrust23THRUST_200600_302600_NS18transform_iteratorI9row_indexNS9_17counting_iteratorImNS9_11use_defaultESD_SD_EESD_SD_EENS9_6detail15normal_iteratorINS9_10device_ptrIiEEEESK_iNS9_4plusIvEENS9_8equal_toIvEEiEE10hipError_tPvRmT2_T3_T4_T5_mT6_T7_P12ihipStream_tbENKUlT_T0_E_clISt17integral_constantIbLb1EES15_EEDaS10_S11_EUlS10_E_NS1_11comp_targetILNS1_3genE9ELNS1_11target_archE1100ELNS1_3gpuE3ELNS1_3repE0EEENS1_30default_config_static_selectorELNS0_4arch9wavefront6targetE0EEEvT1_
    .private_segment_fixed_size: 0
    .sgpr_count:     62
    .sgpr_spill_count: 0
    .symbol:         _ZN7rocprim17ROCPRIM_400000_NS6detail17trampoline_kernelINS0_14default_configENS1_27scan_by_key_config_selectorImiEEZZNS1_16scan_by_key_implILNS1_25lookback_scan_determinismE0ELb0ES3_N6thrust23THRUST_200600_302600_NS18transform_iteratorI9row_indexNS9_17counting_iteratorImNS9_11use_defaultESD_SD_EESD_SD_EENS9_6detail15normal_iteratorINS9_10device_ptrIiEEEESK_iNS9_4plusIvEENS9_8equal_toIvEEiEE10hipError_tPvRmT2_T3_T4_T5_mT6_T7_P12ihipStream_tbENKUlT_T0_E_clISt17integral_constantIbLb1EES15_EEDaS10_S11_EUlS10_E_NS1_11comp_targetILNS1_3genE9ELNS1_11target_archE1100ELNS1_3gpuE3ELNS1_3repE0EEENS1_30default_config_static_selectorELNS0_4arch9wavefront6targetE0EEEvT1_.kd
    .uniform_work_group_size: 1
    .uses_dynamic_stack: false
    .vgpr_count:     75
    .vgpr_spill_count: 0
    .wavefront_size: 32
    .workgroup_processor_mode: 1
  - .args:
      - .offset:         0
        .size:           120
        .value_kind:     by_value
    .group_segment_fixed_size: 0
    .kernarg_segment_align: 8
    .kernarg_segment_size: 120
    .language:       OpenCL C
    .language_version:
      - 2
      - 0
    .max_flat_workgroup_size: 256
    .name:           _ZN7rocprim17ROCPRIM_400000_NS6detail17trampoline_kernelINS0_14default_configENS1_27scan_by_key_config_selectorImiEEZZNS1_16scan_by_key_implILNS1_25lookback_scan_determinismE0ELb0ES3_N6thrust23THRUST_200600_302600_NS18transform_iteratorI9row_indexNS9_17counting_iteratorImNS9_11use_defaultESD_SD_EESD_SD_EENS9_6detail15normal_iteratorINS9_10device_ptrIiEEEESK_iNS9_4plusIvEENS9_8equal_toIvEEiEE10hipError_tPvRmT2_T3_T4_T5_mT6_T7_P12ihipStream_tbENKUlT_T0_E_clISt17integral_constantIbLb1EES15_EEDaS10_S11_EUlS10_E_NS1_11comp_targetILNS1_3genE8ELNS1_11target_archE1030ELNS1_3gpuE2ELNS1_3repE0EEENS1_30default_config_static_selectorELNS0_4arch9wavefront6targetE0EEEvT1_
    .private_segment_fixed_size: 0
    .sgpr_count:     0
    .sgpr_spill_count: 0
    .symbol:         _ZN7rocprim17ROCPRIM_400000_NS6detail17trampoline_kernelINS0_14default_configENS1_27scan_by_key_config_selectorImiEEZZNS1_16scan_by_key_implILNS1_25lookback_scan_determinismE0ELb0ES3_N6thrust23THRUST_200600_302600_NS18transform_iteratorI9row_indexNS9_17counting_iteratorImNS9_11use_defaultESD_SD_EESD_SD_EENS9_6detail15normal_iteratorINS9_10device_ptrIiEEEESK_iNS9_4plusIvEENS9_8equal_toIvEEiEE10hipError_tPvRmT2_T3_T4_T5_mT6_T7_P12ihipStream_tbENKUlT_T0_E_clISt17integral_constantIbLb1EES15_EEDaS10_S11_EUlS10_E_NS1_11comp_targetILNS1_3genE8ELNS1_11target_archE1030ELNS1_3gpuE2ELNS1_3repE0EEENS1_30default_config_static_selectorELNS0_4arch9wavefront6targetE0EEEvT1_.kd
    .uniform_work_group_size: 1
    .uses_dynamic_stack: false
    .vgpr_count:     0
    .vgpr_spill_count: 0
    .wavefront_size: 32
    .workgroup_processor_mode: 1
  - .args:
      - .address_space:  global
        .offset:         0
        .size:           8
        .value_kind:     global_buffer
      - .offset:         8
        .size:           4
        .value_kind:     by_value
      - .offset:         12
        .size:           4
        .value_kind:     by_value
      - .address_space:  global
        .offset:         16
        .size:           8
        .value_kind:     global_buffer
      - .offset:         24
        .size:           16
        .value_kind:     by_value
      - .actual_access:  write_only
        .address_space:  global
        .offset:         40
        .size:           8
        .value_kind:     global_buffer
      - .offset:         48
        .size:           8
        .value_kind:     by_value
      - .offset:         56
        .size:           4
        .value_kind:     by_value
      - .offset:         60
        .size:           1
        .value_kind:     by_value
      - .offset:         64
        .size:           4
        .value_kind:     hidden_block_count_x
      - .offset:         68
        .size:           4
        .value_kind:     hidden_block_count_y
      - .offset:         72
        .size:           4
        .value_kind:     hidden_block_count_z
      - .offset:         76
        .size:           2
        .value_kind:     hidden_group_size_x
      - .offset:         78
        .size:           2
        .value_kind:     hidden_group_size_y
      - .offset:         80
        .size:           2
        .value_kind:     hidden_group_size_z
      - .offset:         82
        .size:           2
        .value_kind:     hidden_remainder_x
      - .offset:         84
        .size:           2
        .value_kind:     hidden_remainder_y
      - .offset:         86
        .size:           2
        .value_kind:     hidden_remainder_z
      - .offset:         104
        .size:           8
        .value_kind:     hidden_global_offset_x
      - .offset:         112
        .size:           8
        .value_kind:     hidden_global_offset_y
      - .offset:         120
        .size:           8
        .value_kind:     hidden_global_offset_z
      - .offset:         128
        .size:           2
        .value_kind:     hidden_grid_dims
    .group_segment_fixed_size: 0
    .kernarg_segment_align: 8
    .kernarg_segment_size: 320
    .language:       OpenCL C
    .language_version:
      - 2
      - 0
    .max_flat_workgroup_size: 256
    .name:           _ZN7rocprim17ROCPRIM_400000_NS6detail30init_device_scan_by_key_kernelINS1_19lookback_scan_stateINS0_5tupleIJibEEELb1ELb1EEEN6thrust23THRUST_200600_302600_NS18transform_iteratorI9row_indexNS8_17counting_iteratorImNS8_11use_defaultESC_SC_EESC_SC_EEjNS1_16block_id_wrapperIjLb0EEEEEvT_jjPNSH_10value_typeET0_PNSt15iterator_traitsISK_E10value_typeEmT1_T2_
    .private_segment_fixed_size: 0
    .sgpr_count:     18
    .sgpr_spill_count: 0
    .symbol:         _ZN7rocprim17ROCPRIM_400000_NS6detail30init_device_scan_by_key_kernelINS1_19lookback_scan_stateINS0_5tupleIJibEEELb1ELb1EEEN6thrust23THRUST_200600_302600_NS18transform_iteratorI9row_indexNS8_17counting_iteratorImNS8_11use_defaultESC_SC_EESC_SC_EEjNS1_16block_id_wrapperIjLb0EEEEEvT_jjPNSH_10value_typeET0_PNSt15iterator_traitsISK_E10value_typeEmT1_T2_.kd
    .uniform_work_group_size: 1
    .uses_dynamic_stack: false
    .vgpr_count:     20
    .vgpr_spill_count: 0
    .wavefront_size: 32
    .workgroup_processor_mode: 1
  - .args:
      - .address_space:  global
        .offset:         0
        .size:           8
        .value_kind:     global_buffer
      - .offset:         8
        .size:           4
        .value_kind:     by_value
      - .offset:         12
        .size:           4
        .value_kind:     by_value
      - .address_space:  global
        .offset:         16
        .size:           8
        .value_kind:     global_buffer
      - .offset:         24
        .size:           1
        .value_kind:     by_value
      - .offset:         32
        .size:           4
        .value_kind:     hidden_block_count_x
      - .offset:         36
        .size:           4
        .value_kind:     hidden_block_count_y
      - .offset:         40
        .size:           4
        .value_kind:     hidden_block_count_z
      - .offset:         44
        .size:           2
        .value_kind:     hidden_group_size_x
      - .offset:         46
        .size:           2
        .value_kind:     hidden_group_size_y
      - .offset:         48
        .size:           2
        .value_kind:     hidden_group_size_z
      - .offset:         50
        .size:           2
        .value_kind:     hidden_remainder_x
      - .offset:         52
        .size:           2
        .value_kind:     hidden_remainder_y
      - .offset:         54
        .size:           2
        .value_kind:     hidden_remainder_z
      - .offset:         72
        .size:           8
        .value_kind:     hidden_global_offset_x
      - .offset:         80
        .size:           8
        .value_kind:     hidden_global_offset_y
      - .offset:         88
        .size:           8
        .value_kind:     hidden_global_offset_z
      - .offset:         96
        .size:           2
        .value_kind:     hidden_grid_dims
    .group_segment_fixed_size: 0
    .kernarg_segment_align: 8
    .kernarg_segment_size: 288
    .language:       OpenCL C
    .language_version:
      - 2
      - 0
    .max_flat_workgroup_size: 256
    .name:           _ZN7rocprim17ROCPRIM_400000_NS6detail30init_device_scan_by_key_kernelINS1_19lookback_scan_stateINS0_5tupleIJibEEELb1ELb1EEENS1_16block_id_wrapperIjLb0EEEEEvT_jjPNS9_10value_typeET0_
    .private_segment_fixed_size: 0
    .sgpr_count:     18
    .sgpr_spill_count: 0
    .symbol:         _ZN7rocprim17ROCPRIM_400000_NS6detail30init_device_scan_by_key_kernelINS1_19lookback_scan_stateINS0_5tupleIJibEEELb1ELb1EEENS1_16block_id_wrapperIjLb0EEEEEvT_jjPNS9_10value_typeET0_.kd
    .uniform_work_group_size: 1
    .uses_dynamic_stack: false
    .vgpr_count:     9
    .vgpr_spill_count: 0
    .wavefront_size: 32
    .workgroup_processor_mode: 1
  - .args:
      - .offset:         0
        .size:           120
        .value_kind:     by_value
    .group_segment_fixed_size: 0
    .kernarg_segment_align: 8
    .kernarg_segment_size: 120
    .language:       OpenCL C
    .language_version:
      - 2
      - 0
    .max_flat_workgroup_size: 256
    .name:           _ZN7rocprim17ROCPRIM_400000_NS6detail17trampoline_kernelINS0_14default_configENS1_27scan_by_key_config_selectorImiEEZZNS1_16scan_by_key_implILNS1_25lookback_scan_determinismE0ELb0ES3_N6thrust23THRUST_200600_302600_NS18transform_iteratorI9row_indexNS9_17counting_iteratorImNS9_11use_defaultESD_SD_EESD_SD_EENS9_6detail15normal_iteratorINS9_10device_ptrIiEEEESK_iNS9_4plusIvEENS9_8equal_toIvEEiEE10hipError_tPvRmT2_T3_T4_T5_mT6_T7_P12ihipStream_tbENKUlT_T0_E_clISt17integral_constantIbLb1EES14_IbLb0EEEEDaS10_S11_EUlS10_E_NS1_11comp_targetILNS1_3genE0ELNS1_11target_archE4294967295ELNS1_3gpuE0ELNS1_3repE0EEENS1_30default_config_static_selectorELNS0_4arch9wavefront6targetE0EEEvT1_
    .private_segment_fixed_size: 0
    .sgpr_count:     0
    .sgpr_spill_count: 0
    .symbol:         _ZN7rocprim17ROCPRIM_400000_NS6detail17trampoline_kernelINS0_14default_configENS1_27scan_by_key_config_selectorImiEEZZNS1_16scan_by_key_implILNS1_25lookback_scan_determinismE0ELb0ES3_N6thrust23THRUST_200600_302600_NS18transform_iteratorI9row_indexNS9_17counting_iteratorImNS9_11use_defaultESD_SD_EESD_SD_EENS9_6detail15normal_iteratorINS9_10device_ptrIiEEEESK_iNS9_4plusIvEENS9_8equal_toIvEEiEE10hipError_tPvRmT2_T3_T4_T5_mT6_T7_P12ihipStream_tbENKUlT_T0_E_clISt17integral_constantIbLb1EES14_IbLb0EEEEDaS10_S11_EUlS10_E_NS1_11comp_targetILNS1_3genE0ELNS1_11target_archE4294967295ELNS1_3gpuE0ELNS1_3repE0EEENS1_30default_config_static_selectorELNS0_4arch9wavefront6targetE0EEEvT1_.kd
    .uniform_work_group_size: 1
    .uses_dynamic_stack: false
    .vgpr_count:     0
    .vgpr_spill_count: 0
    .wavefront_size: 32
    .workgroup_processor_mode: 1
  - .args:
      - .offset:         0
        .size:           120
        .value_kind:     by_value
    .group_segment_fixed_size: 0
    .kernarg_segment_align: 8
    .kernarg_segment_size: 120
    .language:       OpenCL C
    .language_version:
      - 2
      - 0
    .max_flat_workgroup_size: 256
    .name:           _ZN7rocprim17ROCPRIM_400000_NS6detail17trampoline_kernelINS0_14default_configENS1_27scan_by_key_config_selectorImiEEZZNS1_16scan_by_key_implILNS1_25lookback_scan_determinismE0ELb0ES3_N6thrust23THRUST_200600_302600_NS18transform_iteratorI9row_indexNS9_17counting_iteratorImNS9_11use_defaultESD_SD_EESD_SD_EENS9_6detail15normal_iteratorINS9_10device_ptrIiEEEESK_iNS9_4plusIvEENS9_8equal_toIvEEiEE10hipError_tPvRmT2_T3_T4_T5_mT6_T7_P12ihipStream_tbENKUlT_T0_E_clISt17integral_constantIbLb1EES14_IbLb0EEEEDaS10_S11_EUlS10_E_NS1_11comp_targetILNS1_3genE10ELNS1_11target_archE1201ELNS1_3gpuE5ELNS1_3repE0EEENS1_30default_config_static_selectorELNS0_4arch9wavefront6targetE0EEEvT1_
    .private_segment_fixed_size: 0
    .sgpr_count:     0
    .sgpr_spill_count: 0
    .symbol:         _ZN7rocprim17ROCPRIM_400000_NS6detail17trampoline_kernelINS0_14default_configENS1_27scan_by_key_config_selectorImiEEZZNS1_16scan_by_key_implILNS1_25lookback_scan_determinismE0ELb0ES3_N6thrust23THRUST_200600_302600_NS18transform_iteratorI9row_indexNS9_17counting_iteratorImNS9_11use_defaultESD_SD_EESD_SD_EENS9_6detail15normal_iteratorINS9_10device_ptrIiEEEESK_iNS9_4plusIvEENS9_8equal_toIvEEiEE10hipError_tPvRmT2_T3_T4_T5_mT6_T7_P12ihipStream_tbENKUlT_T0_E_clISt17integral_constantIbLb1EES14_IbLb0EEEEDaS10_S11_EUlS10_E_NS1_11comp_targetILNS1_3genE10ELNS1_11target_archE1201ELNS1_3gpuE5ELNS1_3repE0EEENS1_30default_config_static_selectorELNS0_4arch9wavefront6targetE0EEEvT1_.kd
    .uniform_work_group_size: 1
    .uses_dynamic_stack: false
    .vgpr_count:     0
    .vgpr_spill_count: 0
    .wavefront_size: 32
    .workgroup_processor_mode: 1
  - .args:
      - .offset:         0
        .size:           120
        .value_kind:     by_value
    .group_segment_fixed_size: 0
    .kernarg_segment_align: 8
    .kernarg_segment_size: 120
    .language:       OpenCL C
    .language_version:
      - 2
      - 0
    .max_flat_workgroup_size: 256
    .name:           _ZN7rocprim17ROCPRIM_400000_NS6detail17trampoline_kernelINS0_14default_configENS1_27scan_by_key_config_selectorImiEEZZNS1_16scan_by_key_implILNS1_25lookback_scan_determinismE0ELb0ES3_N6thrust23THRUST_200600_302600_NS18transform_iteratorI9row_indexNS9_17counting_iteratorImNS9_11use_defaultESD_SD_EESD_SD_EENS9_6detail15normal_iteratorINS9_10device_ptrIiEEEESK_iNS9_4plusIvEENS9_8equal_toIvEEiEE10hipError_tPvRmT2_T3_T4_T5_mT6_T7_P12ihipStream_tbENKUlT_T0_E_clISt17integral_constantIbLb1EES14_IbLb0EEEEDaS10_S11_EUlS10_E_NS1_11comp_targetILNS1_3genE5ELNS1_11target_archE942ELNS1_3gpuE9ELNS1_3repE0EEENS1_30default_config_static_selectorELNS0_4arch9wavefront6targetE0EEEvT1_
    .private_segment_fixed_size: 0
    .sgpr_count:     0
    .sgpr_spill_count: 0
    .symbol:         _ZN7rocprim17ROCPRIM_400000_NS6detail17trampoline_kernelINS0_14default_configENS1_27scan_by_key_config_selectorImiEEZZNS1_16scan_by_key_implILNS1_25lookback_scan_determinismE0ELb0ES3_N6thrust23THRUST_200600_302600_NS18transform_iteratorI9row_indexNS9_17counting_iteratorImNS9_11use_defaultESD_SD_EESD_SD_EENS9_6detail15normal_iteratorINS9_10device_ptrIiEEEESK_iNS9_4plusIvEENS9_8equal_toIvEEiEE10hipError_tPvRmT2_T3_T4_T5_mT6_T7_P12ihipStream_tbENKUlT_T0_E_clISt17integral_constantIbLb1EES14_IbLb0EEEEDaS10_S11_EUlS10_E_NS1_11comp_targetILNS1_3genE5ELNS1_11target_archE942ELNS1_3gpuE9ELNS1_3repE0EEENS1_30default_config_static_selectorELNS0_4arch9wavefront6targetE0EEEvT1_.kd
    .uniform_work_group_size: 1
    .uses_dynamic_stack: false
    .vgpr_count:     0
    .vgpr_spill_count: 0
    .wavefront_size: 32
    .workgroup_processor_mode: 1
  - .args:
      - .offset:         0
        .size:           120
        .value_kind:     by_value
    .group_segment_fixed_size: 0
    .kernarg_segment_align: 8
    .kernarg_segment_size: 120
    .language:       OpenCL C
    .language_version:
      - 2
      - 0
    .max_flat_workgroup_size: 256
    .name:           _ZN7rocprim17ROCPRIM_400000_NS6detail17trampoline_kernelINS0_14default_configENS1_27scan_by_key_config_selectorImiEEZZNS1_16scan_by_key_implILNS1_25lookback_scan_determinismE0ELb0ES3_N6thrust23THRUST_200600_302600_NS18transform_iteratorI9row_indexNS9_17counting_iteratorImNS9_11use_defaultESD_SD_EESD_SD_EENS9_6detail15normal_iteratorINS9_10device_ptrIiEEEESK_iNS9_4plusIvEENS9_8equal_toIvEEiEE10hipError_tPvRmT2_T3_T4_T5_mT6_T7_P12ihipStream_tbENKUlT_T0_E_clISt17integral_constantIbLb1EES14_IbLb0EEEEDaS10_S11_EUlS10_E_NS1_11comp_targetILNS1_3genE4ELNS1_11target_archE910ELNS1_3gpuE8ELNS1_3repE0EEENS1_30default_config_static_selectorELNS0_4arch9wavefront6targetE0EEEvT1_
    .private_segment_fixed_size: 0
    .sgpr_count:     0
    .sgpr_spill_count: 0
    .symbol:         _ZN7rocprim17ROCPRIM_400000_NS6detail17trampoline_kernelINS0_14default_configENS1_27scan_by_key_config_selectorImiEEZZNS1_16scan_by_key_implILNS1_25lookback_scan_determinismE0ELb0ES3_N6thrust23THRUST_200600_302600_NS18transform_iteratorI9row_indexNS9_17counting_iteratorImNS9_11use_defaultESD_SD_EESD_SD_EENS9_6detail15normal_iteratorINS9_10device_ptrIiEEEESK_iNS9_4plusIvEENS9_8equal_toIvEEiEE10hipError_tPvRmT2_T3_T4_T5_mT6_T7_P12ihipStream_tbENKUlT_T0_E_clISt17integral_constantIbLb1EES14_IbLb0EEEEDaS10_S11_EUlS10_E_NS1_11comp_targetILNS1_3genE4ELNS1_11target_archE910ELNS1_3gpuE8ELNS1_3repE0EEENS1_30default_config_static_selectorELNS0_4arch9wavefront6targetE0EEEvT1_.kd
    .uniform_work_group_size: 1
    .uses_dynamic_stack: false
    .vgpr_count:     0
    .vgpr_spill_count: 0
    .wavefront_size: 32
    .workgroup_processor_mode: 1
  - .args:
      - .offset:         0
        .size:           120
        .value_kind:     by_value
    .group_segment_fixed_size: 0
    .kernarg_segment_align: 8
    .kernarg_segment_size: 120
    .language:       OpenCL C
    .language_version:
      - 2
      - 0
    .max_flat_workgroup_size: 256
    .name:           _ZN7rocprim17ROCPRIM_400000_NS6detail17trampoline_kernelINS0_14default_configENS1_27scan_by_key_config_selectorImiEEZZNS1_16scan_by_key_implILNS1_25lookback_scan_determinismE0ELb0ES3_N6thrust23THRUST_200600_302600_NS18transform_iteratorI9row_indexNS9_17counting_iteratorImNS9_11use_defaultESD_SD_EESD_SD_EENS9_6detail15normal_iteratorINS9_10device_ptrIiEEEESK_iNS9_4plusIvEENS9_8equal_toIvEEiEE10hipError_tPvRmT2_T3_T4_T5_mT6_T7_P12ihipStream_tbENKUlT_T0_E_clISt17integral_constantIbLb1EES14_IbLb0EEEEDaS10_S11_EUlS10_E_NS1_11comp_targetILNS1_3genE3ELNS1_11target_archE908ELNS1_3gpuE7ELNS1_3repE0EEENS1_30default_config_static_selectorELNS0_4arch9wavefront6targetE0EEEvT1_
    .private_segment_fixed_size: 0
    .sgpr_count:     0
    .sgpr_spill_count: 0
    .symbol:         _ZN7rocprim17ROCPRIM_400000_NS6detail17trampoline_kernelINS0_14default_configENS1_27scan_by_key_config_selectorImiEEZZNS1_16scan_by_key_implILNS1_25lookback_scan_determinismE0ELb0ES3_N6thrust23THRUST_200600_302600_NS18transform_iteratorI9row_indexNS9_17counting_iteratorImNS9_11use_defaultESD_SD_EESD_SD_EENS9_6detail15normal_iteratorINS9_10device_ptrIiEEEESK_iNS9_4plusIvEENS9_8equal_toIvEEiEE10hipError_tPvRmT2_T3_T4_T5_mT6_T7_P12ihipStream_tbENKUlT_T0_E_clISt17integral_constantIbLb1EES14_IbLb0EEEEDaS10_S11_EUlS10_E_NS1_11comp_targetILNS1_3genE3ELNS1_11target_archE908ELNS1_3gpuE7ELNS1_3repE0EEENS1_30default_config_static_selectorELNS0_4arch9wavefront6targetE0EEEvT1_.kd
    .uniform_work_group_size: 1
    .uses_dynamic_stack: false
    .vgpr_count:     0
    .vgpr_spill_count: 0
    .wavefront_size: 32
    .workgroup_processor_mode: 1
  - .args:
      - .offset:         0
        .size:           120
        .value_kind:     by_value
    .group_segment_fixed_size: 0
    .kernarg_segment_align: 8
    .kernarg_segment_size: 120
    .language:       OpenCL C
    .language_version:
      - 2
      - 0
    .max_flat_workgroup_size: 256
    .name:           _ZN7rocprim17ROCPRIM_400000_NS6detail17trampoline_kernelINS0_14default_configENS1_27scan_by_key_config_selectorImiEEZZNS1_16scan_by_key_implILNS1_25lookback_scan_determinismE0ELb0ES3_N6thrust23THRUST_200600_302600_NS18transform_iteratorI9row_indexNS9_17counting_iteratorImNS9_11use_defaultESD_SD_EESD_SD_EENS9_6detail15normal_iteratorINS9_10device_ptrIiEEEESK_iNS9_4plusIvEENS9_8equal_toIvEEiEE10hipError_tPvRmT2_T3_T4_T5_mT6_T7_P12ihipStream_tbENKUlT_T0_E_clISt17integral_constantIbLb1EES14_IbLb0EEEEDaS10_S11_EUlS10_E_NS1_11comp_targetILNS1_3genE2ELNS1_11target_archE906ELNS1_3gpuE6ELNS1_3repE0EEENS1_30default_config_static_selectorELNS0_4arch9wavefront6targetE0EEEvT1_
    .private_segment_fixed_size: 0
    .sgpr_count:     0
    .sgpr_spill_count: 0
    .symbol:         _ZN7rocprim17ROCPRIM_400000_NS6detail17trampoline_kernelINS0_14default_configENS1_27scan_by_key_config_selectorImiEEZZNS1_16scan_by_key_implILNS1_25lookback_scan_determinismE0ELb0ES3_N6thrust23THRUST_200600_302600_NS18transform_iteratorI9row_indexNS9_17counting_iteratorImNS9_11use_defaultESD_SD_EESD_SD_EENS9_6detail15normal_iteratorINS9_10device_ptrIiEEEESK_iNS9_4plusIvEENS9_8equal_toIvEEiEE10hipError_tPvRmT2_T3_T4_T5_mT6_T7_P12ihipStream_tbENKUlT_T0_E_clISt17integral_constantIbLb1EES14_IbLb0EEEEDaS10_S11_EUlS10_E_NS1_11comp_targetILNS1_3genE2ELNS1_11target_archE906ELNS1_3gpuE6ELNS1_3repE0EEENS1_30default_config_static_selectorELNS0_4arch9wavefront6targetE0EEEvT1_.kd
    .uniform_work_group_size: 1
    .uses_dynamic_stack: false
    .vgpr_count:     0
    .vgpr_spill_count: 0
    .wavefront_size: 32
    .workgroup_processor_mode: 1
  - .args:
      - .offset:         0
        .size:           120
        .value_kind:     by_value
    .group_segment_fixed_size: 0
    .kernarg_segment_align: 8
    .kernarg_segment_size: 120
    .language:       OpenCL C
    .language_version:
      - 2
      - 0
    .max_flat_workgroup_size: 256
    .name:           _ZN7rocprim17ROCPRIM_400000_NS6detail17trampoline_kernelINS0_14default_configENS1_27scan_by_key_config_selectorImiEEZZNS1_16scan_by_key_implILNS1_25lookback_scan_determinismE0ELb0ES3_N6thrust23THRUST_200600_302600_NS18transform_iteratorI9row_indexNS9_17counting_iteratorImNS9_11use_defaultESD_SD_EESD_SD_EENS9_6detail15normal_iteratorINS9_10device_ptrIiEEEESK_iNS9_4plusIvEENS9_8equal_toIvEEiEE10hipError_tPvRmT2_T3_T4_T5_mT6_T7_P12ihipStream_tbENKUlT_T0_E_clISt17integral_constantIbLb1EES14_IbLb0EEEEDaS10_S11_EUlS10_E_NS1_11comp_targetILNS1_3genE10ELNS1_11target_archE1200ELNS1_3gpuE4ELNS1_3repE0EEENS1_30default_config_static_selectorELNS0_4arch9wavefront6targetE0EEEvT1_
    .private_segment_fixed_size: 0
    .sgpr_count:     0
    .sgpr_spill_count: 0
    .symbol:         _ZN7rocprim17ROCPRIM_400000_NS6detail17trampoline_kernelINS0_14default_configENS1_27scan_by_key_config_selectorImiEEZZNS1_16scan_by_key_implILNS1_25lookback_scan_determinismE0ELb0ES3_N6thrust23THRUST_200600_302600_NS18transform_iteratorI9row_indexNS9_17counting_iteratorImNS9_11use_defaultESD_SD_EESD_SD_EENS9_6detail15normal_iteratorINS9_10device_ptrIiEEEESK_iNS9_4plusIvEENS9_8equal_toIvEEiEE10hipError_tPvRmT2_T3_T4_T5_mT6_T7_P12ihipStream_tbENKUlT_T0_E_clISt17integral_constantIbLb1EES14_IbLb0EEEEDaS10_S11_EUlS10_E_NS1_11comp_targetILNS1_3genE10ELNS1_11target_archE1200ELNS1_3gpuE4ELNS1_3repE0EEENS1_30default_config_static_selectorELNS0_4arch9wavefront6targetE0EEEvT1_.kd
    .uniform_work_group_size: 1
    .uses_dynamic_stack: false
    .vgpr_count:     0
    .vgpr_spill_count: 0
    .wavefront_size: 32
    .workgroup_processor_mode: 1
  - .args:
      - .offset:         0
        .size:           120
        .value_kind:     by_value
    .group_segment_fixed_size: 37888
    .kernarg_segment_align: 8
    .kernarg_segment_size: 120
    .language:       OpenCL C
    .language_version:
      - 2
      - 0
    .max_flat_workgroup_size: 256
    .name:           _ZN7rocprim17ROCPRIM_400000_NS6detail17trampoline_kernelINS0_14default_configENS1_27scan_by_key_config_selectorImiEEZZNS1_16scan_by_key_implILNS1_25lookback_scan_determinismE0ELb0ES3_N6thrust23THRUST_200600_302600_NS18transform_iteratorI9row_indexNS9_17counting_iteratorImNS9_11use_defaultESD_SD_EESD_SD_EENS9_6detail15normal_iteratorINS9_10device_ptrIiEEEESK_iNS9_4plusIvEENS9_8equal_toIvEEiEE10hipError_tPvRmT2_T3_T4_T5_mT6_T7_P12ihipStream_tbENKUlT_T0_E_clISt17integral_constantIbLb1EES14_IbLb0EEEEDaS10_S11_EUlS10_E_NS1_11comp_targetILNS1_3genE9ELNS1_11target_archE1100ELNS1_3gpuE3ELNS1_3repE0EEENS1_30default_config_static_selectorELNS0_4arch9wavefront6targetE0EEEvT1_
    .private_segment_fixed_size: 0
    .sgpr_count:     60
    .sgpr_spill_count: 0
    .symbol:         _ZN7rocprim17ROCPRIM_400000_NS6detail17trampoline_kernelINS0_14default_configENS1_27scan_by_key_config_selectorImiEEZZNS1_16scan_by_key_implILNS1_25lookback_scan_determinismE0ELb0ES3_N6thrust23THRUST_200600_302600_NS18transform_iteratorI9row_indexNS9_17counting_iteratorImNS9_11use_defaultESD_SD_EESD_SD_EENS9_6detail15normal_iteratorINS9_10device_ptrIiEEEESK_iNS9_4plusIvEENS9_8equal_toIvEEiEE10hipError_tPvRmT2_T3_T4_T5_mT6_T7_P12ihipStream_tbENKUlT_T0_E_clISt17integral_constantIbLb1EES14_IbLb0EEEEDaS10_S11_EUlS10_E_NS1_11comp_targetILNS1_3genE9ELNS1_11target_archE1100ELNS1_3gpuE3ELNS1_3repE0EEENS1_30default_config_static_selectorELNS0_4arch9wavefront6targetE0EEEvT1_.kd
    .uniform_work_group_size: 1
    .uses_dynamic_stack: false
    .vgpr_count:     75
    .vgpr_spill_count: 0
    .wavefront_size: 32
    .workgroup_processor_mode: 1
  - .args:
      - .offset:         0
        .size:           120
        .value_kind:     by_value
    .group_segment_fixed_size: 0
    .kernarg_segment_align: 8
    .kernarg_segment_size: 120
    .language:       OpenCL C
    .language_version:
      - 2
      - 0
    .max_flat_workgroup_size: 256
    .name:           _ZN7rocprim17ROCPRIM_400000_NS6detail17trampoline_kernelINS0_14default_configENS1_27scan_by_key_config_selectorImiEEZZNS1_16scan_by_key_implILNS1_25lookback_scan_determinismE0ELb0ES3_N6thrust23THRUST_200600_302600_NS18transform_iteratorI9row_indexNS9_17counting_iteratorImNS9_11use_defaultESD_SD_EESD_SD_EENS9_6detail15normal_iteratorINS9_10device_ptrIiEEEESK_iNS9_4plusIvEENS9_8equal_toIvEEiEE10hipError_tPvRmT2_T3_T4_T5_mT6_T7_P12ihipStream_tbENKUlT_T0_E_clISt17integral_constantIbLb1EES14_IbLb0EEEEDaS10_S11_EUlS10_E_NS1_11comp_targetILNS1_3genE8ELNS1_11target_archE1030ELNS1_3gpuE2ELNS1_3repE0EEENS1_30default_config_static_selectorELNS0_4arch9wavefront6targetE0EEEvT1_
    .private_segment_fixed_size: 0
    .sgpr_count:     0
    .sgpr_spill_count: 0
    .symbol:         _ZN7rocprim17ROCPRIM_400000_NS6detail17trampoline_kernelINS0_14default_configENS1_27scan_by_key_config_selectorImiEEZZNS1_16scan_by_key_implILNS1_25lookback_scan_determinismE0ELb0ES3_N6thrust23THRUST_200600_302600_NS18transform_iteratorI9row_indexNS9_17counting_iteratorImNS9_11use_defaultESD_SD_EESD_SD_EENS9_6detail15normal_iteratorINS9_10device_ptrIiEEEESK_iNS9_4plusIvEENS9_8equal_toIvEEiEE10hipError_tPvRmT2_T3_T4_T5_mT6_T7_P12ihipStream_tbENKUlT_T0_E_clISt17integral_constantIbLb1EES14_IbLb0EEEEDaS10_S11_EUlS10_E_NS1_11comp_targetILNS1_3genE8ELNS1_11target_archE1030ELNS1_3gpuE2ELNS1_3repE0EEENS1_30default_config_static_selectorELNS0_4arch9wavefront6targetE0EEEvT1_.kd
    .uniform_work_group_size: 1
    .uses_dynamic_stack: false
    .vgpr_count:     0
    .vgpr_spill_count: 0
    .wavefront_size: 32
    .workgroup_processor_mode: 1
  - .args:
      - .address_space:  global
        .offset:         0
        .size:           8
        .value_kind:     global_buffer
      - .offset:         8
        .size:           4
        .value_kind:     by_value
      - .offset:         12
        .size:           4
        .value_kind:     by_value
      - .address_space:  global
        .offset:         16
        .size:           8
        .value_kind:     global_buffer
      - .offset:         24
        .size:           16
        .value_kind:     by_value
      - .actual_access:  write_only
        .address_space:  global
        .offset:         40
        .size:           8
        .value_kind:     global_buffer
      - .offset:         48
        .size:           8
        .value_kind:     by_value
      - .offset:         56
        .size:           4
        .value_kind:     by_value
      - .address_space:  global
        .offset:         64
        .size:           8
        .value_kind:     global_buffer
      - .offset:         72
        .size:           4
        .value_kind:     hidden_block_count_x
      - .offset:         76
        .size:           4
        .value_kind:     hidden_block_count_y
      - .offset:         80
        .size:           4
        .value_kind:     hidden_block_count_z
      - .offset:         84
        .size:           2
        .value_kind:     hidden_group_size_x
      - .offset:         86
        .size:           2
        .value_kind:     hidden_group_size_y
      - .offset:         88
        .size:           2
        .value_kind:     hidden_group_size_z
      - .offset:         90
        .size:           2
        .value_kind:     hidden_remainder_x
      - .offset:         92
        .size:           2
        .value_kind:     hidden_remainder_y
      - .offset:         94
        .size:           2
        .value_kind:     hidden_remainder_z
      - .offset:         112
        .size:           8
        .value_kind:     hidden_global_offset_x
      - .offset:         120
        .size:           8
        .value_kind:     hidden_global_offset_y
      - .offset:         128
        .size:           8
        .value_kind:     hidden_global_offset_z
      - .offset:         136
        .size:           2
        .value_kind:     hidden_grid_dims
    .group_segment_fixed_size: 0
    .kernarg_segment_align: 8
    .kernarg_segment_size: 328
    .language:       OpenCL C
    .language_version:
      - 2
      - 0
    .max_flat_workgroup_size: 256
    .name:           _ZN7rocprim17ROCPRIM_400000_NS6detail30init_device_scan_by_key_kernelINS1_19lookback_scan_stateINS0_5tupleIJibEEELb0ELb1EEEN6thrust23THRUST_200600_302600_NS18transform_iteratorI9row_indexNS8_17counting_iteratorImNS8_11use_defaultESC_SC_EESC_SC_EEjNS1_16block_id_wrapperIjLb1EEEEEvT_jjPNSH_10value_typeET0_PNSt15iterator_traitsISK_E10value_typeEmT1_T2_
    .private_segment_fixed_size: 0
    .sgpr_count:     18
    .sgpr_spill_count: 0
    .symbol:         _ZN7rocprim17ROCPRIM_400000_NS6detail30init_device_scan_by_key_kernelINS1_19lookback_scan_stateINS0_5tupleIJibEEELb0ELb1EEEN6thrust23THRUST_200600_302600_NS18transform_iteratorI9row_indexNS8_17counting_iteratorImNS8_11use_defaultESC_SC_EESC_SC_EEjNS1_16block_id_wrapperIjLb1EEEEEvT_jjPNSH_10value_typeET0_PNSt15iterator_traitsISK_E10value_typeEmT1_T2_.kd
    .uniform_work_group_size: 1
    .uses_dynamic_stack: false
    .vgpr_count:     20
    .vgpr_spill_count: 0
    .wavefront_size: 32
    .workgroup_processor_mode: 1
  - .args:
      - .address_space:  global
        .offset:         0
        .size:           8
        .value_kind:     global_buffer
      - .offset:         8
        .size:           4
        .value_kind:     by_value
      - .offset:         12
        .size:           4
        .value_kind:     by_value
      - .address_space:  global
        .offset:         16
        .size:           8
        .value_kind:     global_buffer
      - .address_space:  global
        .offset:         24
        .size:           8
        .value_kind:     global_buffer
      - .offset:         32
        .size:           4
        .value_kind:     hidden_block_count_x
      - .offset:         36
        .size:           4
        .value_kind:     hidden_block_count_y
      - .offset:         40
        .size:           4
        .value_kind:     hidden_block_count_z
      - .offset:         44
        .size:           2
        .value_kind:     hidden_group_size_x
      - .offset:         46
        .size:           2
        .value_kind:     hidden_group_size_y
      - .offset:         48
        .size:           2
        .value_kind:     hidden_group_size_z
      - .offset:         50
        .size:           2
        .value_kind:     hidden_remainder_x
      - .offset:         52
        .size:           2
        .value_kind:     hidden_remainder_y
      - .offset:         54
        .size:           2
        .value_kind:     hidden_remainder_z
      - .offset:         72
        .size:           8
        .value_kind:     hidden_global_offset_x
      - .offset:         80
        .size:           8
        .value_kind:     hidden_global_offset_y
      - .offset:         88
        .size:           8
        .value_kind:     hidden_global_offset_z
      - .offset:         96
        .size:           2
        .value_kind:     hidden_grid_dims
    .group_segment_fixed_size: 0
    .kernarg_segment_align: 8
    .kernarg_segment_size: 288
    .language:       OpenCL C
    .language_version:
      - 2
      - 0
    .max_flat_workgroup_size: 256
    .name:           _ZN7rocprim17ROCPRIM_400000_NS6detail30init_device_scan_by_key_kernelINS1_19lookback_scan_stateINS0_5tupleIJibEEELb0ELb1EEENS1_16block_id_wrapperIjLb1EEEEEvT_jjPNS9_10value_typeET0_
    .private_segment_fixed_size: 0
    .sgpr_count:     18
    .sgpr_spill_count: 0
    .symbol:         _ZN7rocprim17ROCPRIM_400000_NS6detail30init_device_scan_by_key_kernelINS1_19lookback_scan_stateINS0_5tupleIJibEEELb0ELb1EEENS1_16block_id_wrapperIjLb1EEEEEvT_jjPNS9_10value_typeET0_.kd
    .uniform_work_group_size: 1
    .uses_dynamic_stack: false
    .vgpr_count:     9
    .vgpr_spill_count: 0
    .wavefront_size: 32
    .workgroup_processor_mode: 1
  - .args:
      - .offset:         0
        .size:           120
        .value_kind:     by_value
    .group_segment_fixed_size: 0
    .kernarg_segment_align: 8
    .kernarg_segment_size: 120
    .language:       OpenCL C
    .language_version:
      - 2
      - 0
    .max_flat_workgroup_size: 256
    .name:           _ZN7rocprim17ROCPRIM_400000_NS6detail17trampoline_kernelINS0_14default_configENS1_27scan_by_key_config_selectorImiEEZZNS1_16scan_by_key_implILNS1_25lookback_scan_determinismE0ELb0ES3_N6thrust23THRUST_200600_302600_NS18transform_iteratorI9row_indexNS9_17counting_iteratorImNS9_11use_defaultESD_SD_EESD_SD_EENS9_6detail15normal_iteratorINS9_10device_ptrIiEEEESK_iNS9_4plusIvEENS9_8equal_toIvEEiEE10hipError_tPvRmT2_T3_T4_T5_mT6_T7_P12ihipStream_tbENKUlT_T0_E_clISt17integral_constantIbLb0EES14_IbLb1EEEEDaS10_S11_EUlS10_E_NS1_11comp_targetILNS1_3genE0ELNS1_11target_archE4294967295ELNS1_3gpuE0ELNS1_3repE0EEENS1_30default_config_static_selectorELNS0_4arch9wavefront6targetE0EEEvT1_
    .private_segment_fixed_size: 0
    .sgpr_count:     0
    .sgpr_spill_count: 0
    .symbol:         _ZN7rocprim17ROCPRIM_400000_NS6detail17trampoline_kernelINS0_14default_configENS1_27scan_by_key_config_selectorImiEEZZNS1_16scan_by_key_implILNS1_25lookback_scan_determinismE0ELb0ES3_N6thrust23THRUST_200600_302600_NS18transform_iteratorI9row_indexNS9_17counting_iteratorImNS9_11use_defaultESD_SD_EESD_SD_EENS9_6detail15normal_iteratorINS9_10device_ptrIiEEEESK_iNS9_4plusIvEENS9_8equal_toIvEEiEE10hipError_tPvRmT2_T3_T4_T5_mT6_T7_P12ihipStream_tbENKUlT_T0_E_clISt17integral_constantIbLb0EES14_IbLb1EEEEDaS10_S11_EUlS10_E_NS1_11comp_targetILNS1_3genE0ELNS1_11target_archE4294967295ELNS1_3gpuE0ELNS1_3repE0EEENS1_30default_config_static_selectorELNS0_4arch9wavefront6targetE0EEEvT1_.kd
    .uniform_work_group_size: 1
    .uses_dynamic_stack: false
    .vgpr_count:     0
    .vgpr_spill_count: 0
    .wavefront_size: 32
    .workgroup_processor_mode: 1
  - .args:
      - .offset:         0
        .size:           120
        .value_kind:     by_value
    .group_segment_fixed_size: 0
    .kernarg_segment_align: 8
    .kernarg_segment_size: 120
    .language:       OpenCL C
    .language_version:
      - 2
      - 0
    .max_flat_workgroup_size: 256
    .name:           _ZN7rocprim17ROCPRIM_400000_NS6detail17trampoline_kernelINS0_14default_configENS1_27scan_by_key_config_selectorImiEEZZNS1_16scan_by_key_implILNS1_25lookback_scan_determinismE0ELb0ES3_N6thrust23THRUST_200600_302600_NS18transform_iteratorI9row_indexNS9_17counting_iteratorImNS9_11use_defaultESD_SD_EESD_SD_EENS9_6detail15normal_iteratorINS9_10device_ptrIiEEEESK_iNS9_4plusIvEENS9_8equal_toIvEEiEE10hipError_tPvRmT2_T3_T4_T5_mT6_T7_P12ihipStream_tbENKUlT_T0_E_clISt17integral_constantIbLb0EES14_IbLb1EEEEDaS10_S11_EUlS10_E_NS1_11comp_targetILNS1_3genE10ELNS1_11target_archE1201ELNS1_3gpuE5ELNS1_3repE0EEENS1_30default_config_static_selectorELNS0_4arch9wavefront6targetE0EEEvT1_
    .private_segment_fixed_size: 0
    .sgpr_count:     0
    .sgpr_spill_count: 0
    .symbol:         _ZN7rocprim17ROCPRIM_400000_NS6detail17trampoline_kernelINS0_14default_configENS1_27scan_by_key_config_selectorImiEEZZNS1_16scan_by_key_implILNS1_25lookback_scan_determinismE0ELb0ES3_N6thrust23THRUST_200600_302600_NS18transform_iteratorI9row_indexNS9_17counting_iteratorImNS9_11use_defaultESD_SD_EESD_SD_EENS9_6detail15normal_iteratorINS9_10device_ptrIiEEEESK_iNS9_4plusIvEENS9_8equal_toIvEEiEE10hipError_tPvRmT2_T3_T4_T5_mT6_T7_P12ihipStream_tbENKUlT_T0_E_clISt17integral_constantIbLb0EES14_IbLb1EEEEDaS10_S11_EUlS10_E_NS1_11comp_targetILNS1_3genE10ELNS1_11target_archE1201ELNS1_3gpuE5ELNS1_3repE0EEENS1_30default_config_static_selectorELNS0_4arch9wavefront6targetE0EEEvT1_.kd
    .uniform_work_group_size: 1
    .uses_dynamic_stack: false
    .vgpr_count:     0
    .vgpr_spill_count: 0
    .wavefront_size: 32
    .workgroup_processor_mode: 1
  - .args:
      - .offset:         0
        .size:           120
        .value_kind:     by_value
    .group_segment_fixed_size: 0
    .kernarg_segment_align: 8
    .kernarg_segment_size: 120
    .language:       OpenCL C
    .language_version:
      - 2
      - 0
    .max_flat_workgroup_size: 256
    .name:           _ZN7rocprim17ROCPRIM_400000_NS6detail17trampoline_kernelINS0_14default_configENS1_27scan_by_key_config_selectorImiEEZZNS1_16scan_by_key_implILNS1_25lookback_scan_determinismE0ELb0ES3_N6thrust23THRUST_200600_302600_NS18transform_iteratorI9row_indexNS9_17counting_iteratorImNS9_11use_defaultESD_SD_EESD_SD_EENS9_6detail15normal_iteratorINS9_10device_ptrIiEEEESK_iNS9_4plusIvEENS9_8equal_toIvEEiEE10hipError_tPvRmT2_T3_T4_T5_mT6_T7_P12ihipStream_tbENKUlT_T0_E_clISt17integral_constantIbLb0EES14_IbLb1EEEEDaS10_S11_EUlS10_E_NS1_11comp_targetILNS1_3genE5ELNS1_11target_archE942ELNS1_3gpuE9ELNS1_3repE0EEENS1_30default_config_static_selectorELNS0_4arch9wavefront6targetE0EEEvT1_
    .private_segment_fixed_size: 0
    .sgpr_count:     0
    .sgpr_spill_count: 0
    .symbol:         _ZN7rocprim17ROCPRIM_400000_NS6detail17trampoline_kernelINS0_14default_configENS1_27scan_by_key_config_selectorImiEEZZNS1_16scan_by_key_implILNS1_25lookback_scan_determinismE0ELb0ES3_N6thrust23THRUST_200600_302600_NS18transform_iteratorI9row_indexNS9_17counting_iteratorImNS9_11use_defaultESD_SD_EESD_SD_EENS9_6detail15normal_iteratorINS9_10device_ptrIiEEEESK_iNS9_4plusIvEENS9_8equal_toIvEEiEE10hipError_tPvRmT2_T3_T4_T5_mT6_T7_P12ihipStream_tbENKUlT_T0_E_clISt17integral_constantIbLb0EES14_IbLb1EEEEDaS10_S11_EUlS10_E_NS1_11comp_targetILNS1_3genE5ELNS1_11target_archE942ELNS1_3gpuE9ELNS1_3repE0EEENS1_30default_config_static_selectorELNS0_4arch9wavefront6targetE0EEEvT1_.kd
    .uniform_work_group_size: 1
    .uses_dynamic_stack: false
    .vgpr_count:     0
    .vgpr_spill_count: 0
    .wavefront_size: 32
    .workgroup_processor_mode: 1
  - .args:
      - .offset:         0
        .size:           120
        .value_kind:     by_value
    .group_segment_fixed_size: 0
    .kernarg_segment_align: 8
    .kernarg_segment_size: 120
    .language:       OpenCL C
    .language_version:
      - 2
      - 0
    .max_flat_workgroup_size: 256
    .name:           _ZN7rocprim17ROCPRIM_400000_NS6detail17trampoline_kernelINS0_14default_configENS1_27scan_by_key_config_selectorImiEEZZNS1_16scan_by_key_implILNS1_25lookback_scan_determinismE0ELb0ES3_N6thrust23THRUST_200600_302600_NS18transform_iteratorI9row_indexNS9_17counting_iteratorImNS9_11use_defaultESD_SD_EESD_SD_EENS9_6detail15normal_iteratorINS9_10device_ptrIiEEEESK_iNS9_4plusIvEENS9_8equal_toIvEEiEE10hipError_tPvRmT2_T3_T4_T5_mT6_T7_P12ihipStream_tbENKUlT_T0_E_clISt17integral_constantIbLb0EES14_IbLb1EEEEDaS10_S11_EUlS10_E_NS1_11comp_targetILNS1_3genE4ELNS1_11target_archE910ELNS1_3gpuE8ELNS1_3repE0EEENS1_30default_config_static_selectorELNS0_4arch9wavefront6targetE0EEEvT1_
    .private_segment_fixed_size: 0
    .sgpr_count:     0
    .sgpr_spill_count: 0
    .symbol:         _ZN7rocprim17ROCPRIM_400000_NS6detail17trampoline_kernelINS0_14default_configENS1_27scan_by_key_config_selectorImiEEZZNS1_16scan_by_key_implILNS1_25lookback_scan_determinismE0ELb0ES3_N6thrust23THRUST_200600_302600_NS18transform_iteratorI9row_indexNS9_17counting_iteratorImNS9_11use_defaultESD_SD_EESD_SD_EENS9_6detail15normal_iteratorINS9_10device_ptrIiEEEESK_iNS9_4plusIvEENS9_8equal_toIvEEiEE10hipError_tPvRmT2_T3_T4_T5_mT6_T7_P12ihipStream_tbENKUlT_T0_E_clISt17integral_constantIbLb0EES14_IbLb1EEEEDaS10_S11_EUlS10_E_NS1_11comp_targetILNS1_3genE4ELNS1_11target_archE910ELNS1_3gpuE8ELNS1_3repE0EEENS1_30default_config_static_selectorELNS0_4arch9wavefront6targetE0EEEvT1_.kd
    .uniform_work_group_size: 1
    .uses_dynamic_stack: false
    .vgpr_count:     0
    .vgpr_spill_count: 0
    .wavefront_size: 32
    .workgroup_processor_mode: 1
  - .args:
      - .offset:         0
        .size:           120
        .value_kind:     by_value
    .group_segment_fixed_size: 0
    .kernarg_segment_align: 8
    .kernarg_segment_size: 120
    .language:       OpenCL C
    .language_version:
      - 2
      - 0
    .max_flat_workgroup_size: 256
    .name:           _ZN7rocprim17ROCPRIM_400000_NS6detail17trampoline_kernelINS0_14default_configENS1_27scan_by_key_config_selectorImiEEZZNS1_16scan_by_key_implILNS1_25lookback_scan_determinismE0ELb0ES3_N6thrust23THRUST_200600_302600_NS18transform_iteratorI9row_indexNS9_17counting_iteratorImNS9_11use_defaultESD_SD_EESD_SD_EENS9_6detail15normal_iteratorINS9_10device_ptrIiEEEESK_iNS9_4plusIvEENS9_8equal_toIvEEiEE10hipError_tPvRmT2_T3_T4_T5_mT6_T7_P12ihipStream_tbENKUlT_T0_E_clISt17integral_constantIbLb0EES14_IbLb1EEEEDaS10_S11_EUlS10_E_NS1_11comp_targetILNS1_3genE3ELNS1_11target_archE908ELNS1_3gpuE7ELNS1_3repE0EEENS1_30default_config_static_selectorELNS0_4arch9wavefront6targetE0EEEvT1_
    .private_segment_fixed_size: 0
    .sgpr_count:     0
    .sgpr_spill_count: 0
    .symbol:         _ZN7rocprim17ROCPRIM_400000_NS6detail17trampoline_kernelINS0_14default_configENS1_27scan_by_key_config_selectorImiEEZZNS1_16scan_by_key_implILNS1_25lookback_scan_determinismE0ELb0ES3_N6thrust23THRUST_200600_302600_NS18transform_iteratorI9row_indexNS9_17counting_iteratorImNS9_11use_defaultESD_SD_EESD_SD_EENS9_6detail15normal_iteratorINS9_10device_ptrIiEEEESK_iNS9_4plusIvEENS9_8equal_toIvEEiEE10hipError_tPvRmT2_T3_T4_T5_mT6_T7_P12ihipStream_tbENKUlT_T0_E_clISt17integral_constantIbLb0EES14_IbLb1EEEEDaS10_S11_EUlS10_E_NS1_11comp_targetILNS1_3genE3ELNS1_11target_archE908ELNS1_3gpuE7ELNS1_3repE0EEENS1_30default_config_static_selectorELNS0_4arch9wavefront6targetE0EEEvT1_.kd
    .uniform_work_group_size: 1
    .uses_dynamic_stack: false
    .vgpr_count:     0
    .vgpr_spill_count: 0
    .wavefront_size: 32
    .workgroup_processor_mode: 1
  - .args:
      - .offset:         0
        .size:           120
        .value_kind:     by_value
    .group_segment_fixed_size: 0
    .kernarg_segment_align: 8
    .kernarg_segment_size: 120
    .language:       OpenCL C
    .language_version:
      - 2
      - 0
    .max_flat_workgroup_size: 256
    .name:           _ZN7rocprim17ROCPRIM_400000_NS6detail17trampoline_kernelINS0_14default_configENS1_27scan_by_key_config_selectorImiEEZZNS1_16scan_by_key_implILNS1_25lookback_scan_determinismE0ELb0ES3_N6thrust23THRUST_200600_302600_NS18transform_iteratorI9row_indexNS9_17counting_iteratorImNS9_11use_defaultESD_SD_EESD_SD_EENS9_6detail15normal_iteratorINS9_10device_ptrIiEEEESK_iNS9_4plusIvEENS9_8equal_toIvEEiEE10hipError_tPvRmT2_T3_T4_T5_mT6_T7_P12ihipStream_tbENKUlT_T0_E_clISt17integral_constantIbLb0EES14_IbLb1EEEEDaS10_S11_EUlS10_E_NS1_11comp_targetILNS1_3genE2ELNS1_11target_archE906ELNS1_3gpuE6ELNS1_3repE0EEENS1_30default_config_static_selectorELNS0_4arch9wavefront6targetE0EEEvT1_
    .private_segment_fixed_size: 0
    .sgpr_count:     0
    .sgpr_spill_count: 0
    .symbol:         _ZN7rocprim17ROCPRIM_400000_NS6detail17trampoline_kernelINS0_14default_configENS1_27scan_by_key_config_selectorImiEEZZNS1_16scan_by_key_implILNS1_25lookback_scan_determinismE0ELb0ES3_N6thrust23THRUST_200600_302600_NS18transform_iteratorI9row_indexNS9_17counting_iteratorImNS9_11use_defaultESD_SD_EESD_SD_EENS9_6detail15normal_iteratorINS9_10device_ptrIiEEEESK_iNS9_4plusIvEENS9_8equal_toIvEEiEE10hipError_tPvRmT2_T3_T4_T5_mT6_T7_P12ihipStream_tbENKUlT_T0_E_clISt17integral_constantIbLb0EES14_IbLb1EEEEDaS10_S11_EUlS10_E_NS1_11comp_targetILNS1_3genE2ELNS1_11target_archE906ELNS1_3gpuE6ELNS1_3repE0EEENS1_30default_config_static_selectorELNS0_4arch9wavefront6targetE0EEEvT1_.kd
    .uniform_work_group_size: 1
    .uses_dynamic_stack: false
    .vgpr_count:     0
    .vgpr_spill_count: 0
    .wavefront_size: 32
    .workgroup_processor_mode: 1
  - .args:
      - .offset:         0
        .size:           120
        .value_kind:     by_value
    .group_segment_fixed_size: 0
    .kernarg_segment_align: 8
    .kernarg_segment_size: 120
    .language:       OpenCL C
    .language_version:
      - 2
      - 0
    .max_flat_workgroup_size: 256
    .name:           _ZN7rocprim17ROCPRIM_400000_NS6detail17trampoline_kernelINS0_14default_configENS1_27scan_by_key_config_selectorImiEEZZNS1_16scan_by_key_implILNS1_25lookback_scan_determinismE0ELb0ES3_N6thrust23THRUST_200600_302600_NS18transform_iteratorI9row_indexNS9_17counting_iteratorImNS9_11use_defaultESD_SD_EESD_SD_EENS9_6detail15normal_iteratorINS9_10device_ptrIiEEEESK_iNS9_4plusIvEENS9_8equal_toIvEEiEE10hipError_tPvRmT2_T3_T4_T5_mT6_T7_P12ihipStream_tbENKUlT_T0_E_clISt17integral_constantIbLb0EES14_IbLb1EEEEDaS10_S11_EUlS10_E_NS1_11comp_targetILNS1_3genE10ELNS1_11target_archE1200ELNS1_3gpuE4ELNS1_3repE0EEENS1_30default_config_static_selectorELNS0_4arch9wavefront6targetE0EEEvT1_
    .private_segment_fixed_size: 0
    .sgpr_count:     0
    .sgpr_spill_count: 0
    .symbol:         _ZN7rocprim17ROCPRIM_400000_NS6detail17trampoline_kernelINS0_14default_configENS1_27scan_by_key_config_selectorImiEEZZNS1_16scan_by_key_implILNS1_25lookback_scan_determinismE0ELb0ES3_N6thrust23THRUST_200600_302600_NS18transform_iteratorI9row_indexNS9_17counting_iteratorImNS9_11use_defaultESD_SD_EESD_SD_EENS9_6detail15normal_iteratorINS9_10device_ptrIiEEEESK_iNS9_4plusIvEENS9_8equal_toIvEEiEE10hipError_tPvRmT2_T3_T4_T5_mT6_T7_P12ihipStream_tbENKUlT_T0_E_clISt17integral_constantIbLb0EES14_IbLb1EEEEDaS10_S11_EUlS10_E_NS1_11comp_targetILNS1_3genE10ELNS1_11target_archE1200ELNS1_3gpuE4ELNS1_3repE0EEENS1_30default_config_static_selectorELNS0_4arch9wavefront6targetE0EEEvT1_.kd
    .uniform_work_group_size: 1
    .uses_dynamic_stack: false
    .vgpr_count:     0
    .vgpr_spill_count: 0
    .wavefront_size: 32
    .workgroup_processor_mode: 1
  - .args:
      - .offset:         0
        .size:           120
        .value_kind:     by_value
    .group_segment_fixed_size: 37888
    .kernarg_segment_align: 8
    .kernarg_segment_size: 120
    .language:       OpenCL C
    .language_version:
      - 2
      - 0
    .max_flat_workgroup_size: 256
    .name:           _ZN7rocprim17ROCPRIM_400000_NS6detail17trampoline_kernelINS0_14default_configENS1_27scan_by_key_config_selectorImiEEZZNS1_16scan_by_key_implILNS1_25lookback_scan_determinismE0ELb0ES3_N6thrust23THRUST_200600_302600_NS18transform_iteratorI9row_indexNS9_17counting_iteratorImNS9_11use_defaultESD_SD_EESD_SD_EENS9_6detail15normal_iteratorINS9_10device_ptrIiEEEESK_iNS9_4plusIvEENS9_8equal_toIvEEiEE10hipError_tPvRmT2_T3_T4_T5_mT6_T7_P12ihipStream_tbENKUlT_T0_E_clISt17integral_constantIbLb0EES14_IbLb1EEEEDaS10_S11_EUlS10_E_NS1_11comp_targetILNS1_3genE9ELNS1_11target_archE1100ELNS1_3gpuE3ELNS1_3repE0EEENS1_30default_config_static_selectorELNS0_4arch9wavefront6targetE0EEEvT1_
    .private_segment_fixed_size: 0
    .sgpr_count:     62
    .sgpr_spill_count: 0
    .symbol:         _ZN7rocprim17ROCPRIM_400000_NS6detail17trampoline_kernelINS0_14default_configENS1_27scan_by_key_config_selectorImiEEZZNS1_16scan_by_key_implILNS1_25lookback_scan_determinismE0ELb0ES3_N6thrust23THRUST_200600_302600_NS18transform_iteratorI9row_indexNS9_17counting_iteratorImNS9_11use_defaultESD_SD_EESD_SD_EENS9_6detail15normal_iteratorINS9_10device_ptrIiEEEESK_iNS9_4plusIvEENS9_8equal_toIvEEiEE10hipError_tPvRmT2_T3_T4_T5_mT6_T7_P12ihipStream_tbENKUlT_T0_E_clISt17integral_constantIbLb0EES14_IbLb1EEEEDaS10_S11_EUlS10_E_NS1_11comp_targetILNS1_3genE9ELNS1_11target_archE1100ELNS1_3gpuE3ELNS1_3repE0EEENS1_30default_config_static_selectorELNS0_4arch9wavefront6targetE0EEEvT1_.kd
    .uniform_work_group_size: 1
    .uses_dynamic_stack: false
    .vgpr_count:     75
    .vgpr_spill_count: 0
    .wavefront_size: 32
    .workgroup_processor_mode: 1
  - .args:
      - .offset:         0
        .size:           120
        .value_kind:     by_value
    .group_segment_fixed_size: 0
    .kernarg_segment_align: 8
    .kernarg_segment_size: 120
    .language:       OpenCL C
    .language_version:
      - 2
      - 0
    .max_flat_workgroup_size: 256
    .name:           _ZN7rocprim17ROCPRIM_400000_NS6detail17trampoline_kernelINS0_14default_configENS1_27scan_by_key_config_selectorImiEEZZNS1_16scan_by_key_implILNS1_25lookback_scan_determinismE0ELb0ES3_N6thrust23THRUST_200600_302600_NS18transform_iteratorI9row_indexNS9_17counting_iteratorImNS9_11use_defaultESD_SD_EESD_SD_EENS9_6detail15normal_iteratorINS9_10device_ptrIiEEEESK_iNS9_4plusIvEENS9_8equal_toIvEEiEE10hipError_tPvRmT2_T3_T4_T5_mT6_T7_P12ihipStream_tbENKUlT_T0_E_clISt17integral_constantIbLb0EES14_IbLb1EEEEDaS10_S11_EUlS10_E_NS1_11comp_targetILNS1_3genE8ELNS1_11target_archE1030ELNS1_3gpuE2ELNS1_3repE0EEENS1_30default_config_static_selectorELNS0_4arch9wavefront6targetE0EEEvT1_
    .private_segment_fixed_size: 0
    .sgpr_count:     0
    .sgpr_spill_count: 0
    .symbol:         _ZN7rocprim17ROCPRIM_400000_NS6detail17trampoline_kernelINS0_14default_configENS1_27scan_by_key_config_selectorImiEEZZNS1_16scan_by_key_implILNS1_25lookback_scan_determinismE0ELb0ES3_N6thrust23THRUST_200600_302600_NS18transform_iteratorI9row_indexNS9_17counting_iteratorImNS9_11use_defaultESD_SD_EESD_SD_EENS9_6detail15normal_iteratorINS9_10device_ptrIiEEEESK_iNS9_4plusIvEENS9_8equal_toIvEEiEE10hipError_tPvRmT2_T3_T4_T5_mT6_T7_P12ihipStream_tbENKUlT_T0_E_clISt17integral_constantIbLb0EES14_IbLb1EEEEDaS10_S11_EUlS10_E_NS1_11comp_targetILNS1_3genE8ELNS1_11target_archE1030ELNS1_3gpuE2ELNS1_3repE0EEENS1_30default_config_static_selectorELNS0_4arch9wavefront6targetE0EEEvT1_.kd
    .uniform_work_group_size: 1
    .uses_dynamic_stack: false
    .vgpr_count:     0
    .vgpr_spill_count: 0
    .wavefront_size: 32
    .workgroup_processor_mode: 1
  - .args:
      - .offset:         0
        .size:           48
        .value_kind:     by_value
      - .offset:         48
        .size:           8
        .value_kind:     by_value
      - .offset:         56
        .size:           8
        .value_kind:     by_value
    .group_segment_fixed_size: 0
    .kernarg_segment_align: 8
    .kernarg_segment_size: 64
    .language:       OpenCL C
    .language_version:
      - 2
      - 0
    .max_flat_workgroup_size: 256
    .name:           _ZN6thrust23THRUST_200600_302600_NS11hip_rocprim14__parallel_for6kernelILj256ENS1_11__transform17unary_transform_fINS0_20permutation_iteratorINS0_6detail15normal_iteratorINS0_10device_ptrIiEEEENS0_18transform_iteratorI15transpose_indexNS0_17counting_iteratorImNS0_11use_defaultESF_SF_EESF_SF_EEEESB_NS4_14no_stencil_tagENS1_8identityENS4_21always_true_predicateEEExLj1EEEvT0_T1_SO_
    .private_segment_fixed_size: 0
    .sgpr_count:     18
    .sgpr_spill_count: 0
    .symbol:         _ZN6thrust23THRUST_200600_302600_NS11hip_rocprim14__parallel_for6kernelILj256ENS1_11__transform17unary_transform_fINS0_20permutation_iteratorINS0_6detail15normal_iteratorINS0_10device_ptrIiEEEENS0_18transform_iteratorI15transpose_indexNS0_17counting_iteratorImNS0_11use_defaultESF_SF_EESF_SF_EEEESB_NS4_14no_stencil_tagENS1_8identityENS4_21always_true_predicateEEExLj1EEEvT0_T1_SO_.kd
    .uniform_work_group_size: 1
    .uses_dynamic_stack: false
    .vgpr_count:     14
    .vgpr_spill_count: 0
    .wavefront_size: 32
    .workgroup_processor_mode: 1
amdhsa.target:   amdgcn-amd-amdhsa--gfx1100
amdhsa.version:
  - 1
  - 2
...

	.end_amdgpu_metadata
